;; amdgpu-corpus repo=ROCm/rocThrust kind=compiled arch=gfx1250 opt=O3
	.amdgcn_target "amdgcn-amd-amdhsa--gfx1250"
	.amdhsa_code_object_version 6
	.section	.text._ZN7rocprim17ROCPRIM_400000_NS6detail17trampoline_kernelINS0_14default_configENS1_22reduce_config_selectorI18summary_stats_dataIfEEEZNS1_11reduce_implILb1ES3_PS6_S9_S6_23summary_stats_binary_opIfEEE10hipError_tPvRmT1_T2_T3_mT4_P12ihipStream_tbEUlT_E0_NS1_11comp_targetILNS1_3genE0ELNS1_11target_archE4294967295ELNS1_3gpuE0ELNS1_3repE0EEENS1_30default_config_static_selectorELNS0_4arch9wavefront6targetE0EEEvSF_,"axG",@progbits,_ZN7rocprim17ROCPRIM_400000_NS6detail17trampoline_kernelINS0_14default_configENS1_22reduce_config_selectorI18summary_stats_dataIfEEEZNS1_11reduce_implILb1ES3_PS6_S9_S6_23summary_stats_binary_opIfEEE10hipError_tPvRmT1_T2_T3_mT4_P12ihipStream_tbEUlT_E0_NS1_11comp_targetILNS1_3genE0ELNS1_11target_archE4294967295ELNS1_3gpuE0ELNS1_3repE0EEENS1_30default_config_static_selectorELNS0_4arch9wavefront6targetE0EEEvSF_,comdat
	.protected	_ZN7rocprim17ROCPRIM_400000_NS6detail17trampoline_kernelINS0_14default_configENS1_22reduce_config_selectorI18summary_stats_dataIfEEEZNS1_11reduce_implILb1ES3_PS6_S9_S6_23summary_stats_binary_opIfEEE10hipError_tPvRmT1_T2_T3_mT4_P12ihipStream_tbEUlT_E0_NS1_11comp_targetILNS1_3genE0ELNS1_11target_archE4294967295ELNS1_3gpuE0ELNS1_3repE0EEENS1_30default_config_static_selectorELNS0_4arch9wavefront6targetE0EEEvSF_ ; -- Begin function _ZN7rocprim17ROCPRIM_400000_NS6detail17trampoline_kernelINS0_14default_configENS1_22reduce_config_selectorI18summary_stats_dataIfEEEZNS1_11reduce_implILb1ES3_PS6_S9_S6_23summary_stats_binary_opIfEEE10hipError_tPvRmT1_T2_T3_mT4_P12ihipStream_tbEUlT_E0_NS1_11comp_targetILNS1_3genE0ELNS1_11target_archE4294967295ELNS1_3gpuE0ELNS1_3repE0EEENS1_30default_config_static_selectorELNS0_4arch9wavefront6targetE0EEEvSF_
	.globl	_ZN7rocprim17ROCPRIM_400000_NS6detail17trampoline_kernelINS0_14default_configENS1_22reduce_config_selectorI18summary_stats_dataIfEEEZNS1_11reduce_implILb1ES3_PS6_S9_S6_23summary_stats_binary_opIfEEE10hipError_tPvRmT1_T2_T3_mT4_P12ihipStream_tbEUlT_E0_NS1_11comp_targetILNS1_3genE0ELNS1_11target_archE4294967295ELNS1_3gpuE0ELNS1_3repE0EEENS1_30default_config_static_selectorELNS0_4arch9wavefront6targetE0EEEvSF_
	.p2align	8
	.type	_ZN7rocprim17ROCPRIM_400000_NS6detail17trampoline_kernelINS0_14default_configENS1_22reduce_config_selectorI18summary_stats_dataIfEEEZNS1_11reduce_implILb1ES3_PS6_S9_S6_23summary_stats_binary_opIfEEE10hipError_tPvRmT1_T2_T3_mT4_P12ihipStream_tbEUlT_E0_NS1_11comp_targetILNS1_3genE0ELNS1_11target_archE4294967295ELNS1_3gpuE0ELNS1_3repE0EEENS1_30default_config_static_selectorELNS0_4arch9wavefront6targetE0EEEvSF_,@function
_ZN7rocprim17ROCPRIM_400000_NS6detail17trampoline_kernelINS0_14default_configENS1_22reduce_config_selectorI18summary_stats_dataIfEEEZNS1_11reduce_implILb1ES3_PS6_S9_S6_23summary_stats_binary_opIfEEE10hipError_tPvRmT1_T2_T3_mT4_P12ihipStream_tbEUlT_E0_NS1_11comp_targetILNS1_3genE0ELNS1_11target_archE4294967295ELNS1_3gpuE0ELNS1_3repE0EEENS1_30default_config_static_selectorELNS0_4arch9wavefront6targetE0EEEvSF_: ; @_ZN7rocprim17ROCPRIM_400000_NS6detail17trampoline_kernelINS0_14default_configENS1_22reduce_config_selectorI18summary_stats_dataIfEEEZNS1_11reduce_implILb1ES3_PS6_S9_S6_23summary_stats_binary_opIfEEE10hipError_tPvRmT1_T2_T3_mT4_P12ihipStream_tbEUlT_E0_NS1_11comp_targetILNS1_3genE0ELNS1_11target_archE4294967295ELNS1_3gpuE0ELNS1_3repE0EEENS1_30default_config_static_selectorELNS0_4arch9wavefront6targetE0EEEvSF_
; %bb.0:
	s_load_b256 s[4:11], s[0:1], 0x0
	s_bfe_u32 s3, ttmp6, 0x4000c
	s_and_b32 s2, ttmp6, 15
	s_add_co_i32 s3, s3, 1
	s_getreg_b32 s20, hwreg(HW_REG_IB_STS2, 6, 4)
	s_mul_i32 s3, ttmp9, s3
	s_load_b256 s[12:19], s[0:1], 0x20
	s_add_co_i32 s2, s2, s3
	s_cmp_eq_u32 s20, 0
	s_load_b96 s[20:22], s[0:1], 0x40
	s_cselect_b32 s24, ttmp9, s2
	s_mov_b32 s27, 0
	s_lshl_b32 s26, s24, 9
	v_mbcnt_lo_u32_b32 v1, -1, 0
	s_mul_u64 s[2:3], s[26:27], 28
	s_mov_b32 s25, s27
	s_wait_kmcnt 0x0
	s_mul_u64 s[0:1], s[6:7], 28
	s_delay_alu instid0(SALU_CYCLE_1) | instskip(NEXT) | instid1(SALU_CYCLE_1)
	s_add_nc_u64 s[0:1], s[4:5], s[0:1]
	s_add_nc_u64 s[0:1], s[0:1], s[2:3]
	s_delay_alu instid0(SALU_CYCLE_1) | instskip(SKIP_1) | instid1(SALU_CYCLE_1)
	v_mad_nc_u64_u32 v[6:7], v0, 28, s[0:1]
	s_lshr_b64 s[0:1], s[8:9], 9
	s_cmp_lg_u64 s[0:1], s[24:25]
	s_cbranch_scc0 .LBB0_6
; %bb.1:
	s_clause 0x3
	global_load_b128 v[2:5], v[6:7], off offset:7168
	global_load_b128 v[8:11], v[6:7], off
	global_load_b96 v[12:14], v[6:7], off offset:16
	global_load_b96 v[16:18], v[6:7], off offset:7184
	s_wait_loadcnt 0x2
	v_dual_mul_f32 v15, v2, v2 :: v_dual_sub_f32 v5, v5, v11
	v_cmp_lt_f32_e32 vcc_lo, v3, v9
	s_wait_loadcnt 0x1
	v_dual_mul_f32 v19, v12, v2 :: v_dual_mul_f32 v20, v13, v2
	s_wait_loadcnt 0x0
	v_dual_add_f32 v14, v14, v18 :: v_dual_mul_f32 v18, v8, v8
	v_cndmask_b32_e32 v3, v9, v3, vcc_lo
	v_cmp_lt_f32_e32 vcc_lo, v10, v4
	v_dual_add_f32 v9, v13, v17 :: v_dual_mov_b32 v13, v8
	v_dual_mul_f32 v21, v5, v5 :: v_dual_fma_f32 v19, v8, v16, -v19
	v_dual_fma_f32 v24, -v8, v2, v18 :: v_dual_cndmask_b32 v4, v10, v4, vcc_lo
	v_mov_b32_dpp v26, v3 quad_perm:[1,0,3,2] row_mask:0xf bank_mask:0xf
	v_dual_mul_f32 v18, v18, v16 :: v_dual_mul_f32 v25, 4.0, v5
	v_dual_fma_f32 v20, v8, v17, -v20 :: v_dual_mov_b32 v17, v2
	s_delay_alu instid0(VALU_DEP_4) | instskip(NEXT) | instid1(VALU_DEP_4)
	v_mov_b32_dpp v27, v4 quad_perm:[1,0,3,2] row_mask:0xf bank_mask:0xf
	v_cmp_lt_f32_e32 vcc_lo, v3, v26
	v_dual_mul_f32 v28, v5, v21 :: v_dual_mul_f32 v29, v8, v21
	v_dual_mul_f32 v21, 0x40c00000, v21 :: v_dual_fmac_f32 v18, v12, v15
	v_dual_mul_f32 v15, v25, v20 :: v_dual_cndmask_b32 v20, v26, v3
	v_cmp_gt_f32_e32 vcc_lo, v4, v27
	v_dual_mul_f32 v22, v2, v5 :: v_dual_mul_f32 v23, 0x40400000, v5
	v_pk_add_f32 v[12:13], v[12:13], v[16:17]
	v_dual_mul_f32 v5, v5, v28 :: v_dual_mul_f32 v17, v8, v28
	v_dual_cndmask_b32 v4, v27, v4, vcc_lo :: v_dual_mul_f32 v16, v2, v29
	v_mul_f32_e32 v18, v21, v18
	v_mov_b32_dpp v21, v20 quad_perm:[2,3,0,1] row_mask:0xf bank_mask:0xf
	v_dual_mul_f32 v19, v23, v19 :: v_dual_fmac_f32 v24, v2, v2
	s_delay_alu instid0(VALU_DEP_4) | instskip(SKIP_1) | instid1(VALU_DEP_4)
	v_mov_b32_dpp v23, v4 quad_perm:[2,3,0,1] row_mask:0xf bank_mask:0xf
	v_sub_f32_e32 v10, v8, v2
	v_cmp_lt_f32_e64 s2, v20, v21
	v_mul_f32_e32 v5, v8, v5
	v_div_scale_f32 v26, null, v13, v13, v22
	s_delay_alu instid0(VALU_DEP_3) | instskip(SKIP_4) | instid1(VALU_DEP_3)
	v_dual_mul_f32 v17, v2, v17 :: v_dual_cndmask_b32 v8, v21, v20, s2
	v_cmp_gt_f32_e64 s2, v4, v23
	v_mul_f32_e32 v25, v13, v13
	v_div_scale_f32 v28, null, v13, v13, v19
	v_rcp_f32_e32 v21, v26
	v_dual_cndmask_b32 v4, v23, v4, s2 :: v_dual_mul_f32 v2, v2, v5
	v_mov_b32_dpp v5, v8 row_ror:4 row_mask:0xf bank_mask:0xf
	v_mul_f32_e32 v10, v10, v17
	v_div_scale_f32 v30, null, v13, v13, v15
	s_delay_alu instid0(VALU_DEP_4) | instskip(NEXT) | instid1(VALU_DEP_4)
	v_mov_b32_dpp v17, v4 row_ror:4 row_mask:0xf bank_mask:0xf
	v_cmp_lt_f32_e64 s4, v8, v5
	v_mov_b32_dpp v3, v13 quad_perm:[1,0,3,2] row_mask:0xf bank_mask:0xf
	v_div_scale_f32 v23, null, v13, v13, v16
	v_rcp_f32_e32 v33, v28
	v_fma_f32 v42, -v26, v21, 1.0
	v_dual_mul_f32 v24, v24, v2 :: v_dual_cndmask_b32 v2, v5, v8, s4
	v_cmp_gt_f32_e64 s4, v4, v17
	v_rcp_f32_e32 v36, v30
	v_dual_mul_f32 v20, v13, v25 :: v_dual_mul_f32 v38, v3, v3
	v_div_scale_f32 v34, null, v25, v25, v18
	v_rcp_f32_e32 v39, v23
	v_fma_f32 v43, -v28, v33, 1.0
	v_dual_cndmask_b32 v4, v17, v4, s4 :: v_dual_fmac_f32 v21, v42, v21
	v_mov_b32_dpp v42, v2 row_ror:8 row_mask:0xf bank_mask:0xf
	v_dual_sub_f32 v37, v3, v13 :: v_dual_fma_f32 v41, -v13, v3, v38
	v_rcp_f32_e32 v40, v34
	v_fma_f32 v44, -v30, v36, 1.0
	v_div_scale_f32 v17, null, v25, v25, v10
	v_div_scale_f32 v27, vcc_lo, v22, v13, v22
	v_fma_f32 v5, -v23, v39, 1.0
	v_fmac_f32_e32 v33, v43, v33
	v_mov_b32_dpp v43, v4 row_ror:8 row_mask:0xf bank_mask:0xf
	v_cmp_lt_f32_e64 s6, v2, v42
	v_dual_fmac_f32 v41, v13, v13 :: v_dual_fmac_f32 v36, v44, v36
	v_rcp_f32_e32 v44, v17
	v_div_scale_f32 v46, null, v20, v20, v24
	v_div_scale_f32 v29, s0, v19, v13, v19
	v_div_scale_f32 v31, s1, v15, v13, v15
	;; [unrolled: 1-line block ×3, first 2 shown]
	v_fma_f32 v8, -v34, v40, 1.0
	v_dual_mul_f32 v48, v27, v21 :: v_dual_fmac_f32 v39, v5, v39
	v_cndmask_b32_e64 v2, v42, v2, s6
	v_cmp_gt_f32_e64 s6, v4, v43
	v_rcp_f32_e32 v42, v46
	v_div_scale_f32 v35, s3, v18, v25, v18
	v_dual_mul_f32 v49, v29, v33 :: v_dual_mul_f32 v50, v31, v36
	v_fmac_f32_e32 v40, v8, v40
	v_cndmask_b32_e64 v5, v43, v4, s6
	v_dual_fma_f32 v4, -v26, v48, v27 :: v_dual_mul_f32 v43, v32, v39
	v_fma_f32 v51, -v17, v44, 1.0
	ds_swizzle_b32 v55, v2 offset:swizzle(BROADCAST,32,15)
	v_div_scale_f32 v45, s4, v10, v25, v10
	v_dual_fma_f32 v52, -v28, v49, v29 :: v_dual_mul_f32 v53, v35, v40
	v_dual_fma_f32 v54, -v30, v50, v31 :: v_dual_fmac_f32 v48, v4, v21
	s_delay_alu instid0(VALU_DEP_2) | instskip(NEXT) | instid1(VALU_DEP_3)
	v_dual_fma_f32 v4, -v23, v43, v32 :: v_dual_fmac_f32 v49, v52, v33
	v_dual_fmac_f32 v44, v51, v44 :: v_dual_fma_f32 v52, -v34, v53, v35
	v_fma_f32 v51, -v46, v42, 1.0
	v_div_scale_f32 v47, s5, v24, v20, v24
	s_delay_alu instid0(VALU_DEP_4) | instskip(SKIP_1) | instid1(VALU_DEP_4)
	v_dual_fmac_f32 v50, v54, v36 :: v_dual_fmac_f32 v43, v4, v39
	v_dual_fma_f32 v26, -v26, v48, v27 :: v_dual_fma_f32 v28, -v28, v49, v29
	v_dual_mul_f32 v27, v45, v44 :: v_dual_fmac_f32 v42, v51, v42
	s_delay_alu instid0(VALU_DEP_3) | instskip(NEXT) | instid1(VALU_DEP_3)
	v_dual_fmac_f32 v53, v52, v40 :: v_dual_fma_f32 v29, -v30, v50, v31
	v_div_fmas_f32 v4, v26, v21, v48
	v_fma_f32 v21, -v23, v43, v32
	s_delay_alu instid0(VALU_DEP_4) | instskip(SKIP_2) | instid1(VALU_DEP_3)
	v_dual_fma_f32 v23, -v17, v27, v45 :: v_dual_mul_f32 v26, v47, v42
	s_mov_b32 vcc_lo, s2
	v_fma_f32 v30, -v34, v53, v35
	v_div_fmas_f32 v21, v21, v39, v43
	v_div_fixup_f32 v22, v4, v13, v22
	v_fmac_f32_e32 v27, v23, v44
	v_fma_f32 v23, -v46, v26, v47
	s_wait_dscnt 0x0
	v_cmp_lt_f32_e32 vcc_lo, v2, v55
	v_div_fixup_f32 v16, v21, v13, v16
	v_add_f32_e32 v11, v11, v22
	ds_swizzle_b32 v8, v5 offset:swizzle(BROADCAST,32,15)
	v_fmac_f32_e32 v26, v23, v42
	v_dual_cndmask_b32 v4, v55, v2, vcc_lo :: v_dual_add_f32 v12, v12, v16
	v_fma_f32 v2, -v17, v27, v45
	s_mov_b32 vcc_lo, s4
	v_mov_b32_dpp v17, v11 quad_perm:[1,0,3,2] row_mask:0xf bank_mask:0xf
	v_fma_f32 v16, -v46, v26, v47
	s_delay_alu instid0(VALU_DEP_3) | instskip(SKIP_1) | instid1(VALU_DEP_3)
	v_div_fmas_f32 v2, v2, v44, v27
	s_mov_b32 vcc_lo, s0
	v_sub_f32_e32 v22, v11, v17
	v_div_fmas_f32 v21, v28, v33, v49
	s_mov_b32 vcc_lo, s5
	v_div_fixup_f32 v10, v2, v25, v10
	v_div_fmas_f32 v16, v16, v42, v26
	v_mov_b32_dpp v2, v12 quad_perm:[1,0,3,2] row_mask:0xf bank_mask:0xf
	s_mov_b32 vcc_lo, s3
	v_div_fixup_f32 v19, v21, v13, v19
	v_div_fmas_f32 v21, v30, v40, v53
	s_mov_b32 vcc_lo, s1
	v_div_fixup_f32 v16, v16, v20, v24
	v_add_f32_e32 v9, v9, v10
	v_mul_f32_e32 v20, v22, v22
	v_div_fmas_f32 v23, v29, v36, v50
	v_dual_mul_f32 v24, v13, v22 :: v_dual_mul_f32 v29, 4.0, v22
	v_mul_f32_e32 v27, v13, v2
	v_mul_f32_e32 v28, v25, v2
	v_pk_add_f32 v[10:11], v[12:13], v[2:3]
	v_div_fixup_f32 v2, v21, v25, v18
	v_add_f32_e32 v14, v14, v16
	v_dual_mul_f32 v26, 0x40400000, v22 :: v_dual_add_f32 v9, v19, v9
	v_dual_mul_f32 v16, v22, v20 :: v_dual_mul_f32 v19, v20, v3
	v_div_fixup_f32 v18, v23, v13, v15
	v_dual_fma_f32 v21, v12, v3, -v27 :: v_dual_fmac_f32 v28, v12, v38
	s_delay_alu instid0(VALU_DEP_3)
	v_dual_mul_f32 v20, 0x40c00000, v20 :: v_dual_mul_f32 v19, v13, v19
	v_div_scale_f32 v23, null, v11, v11, v24
	v_mov_b32_dpp v15, v11 quad_perm:[2,3,0,1] row_mask:0xf bank_mask:0xf
	v_dual_mul_f32 v12, v11, v11 :: v_dual_add_f32 v2, v2, v14
	v_mov_b32_dpp v14, v9 quad_perm:[1,0,3,2] row_mask:0xf bank_mask:0xf
	v_dual_mul_f32 v22, v22, v16 :: v_dual_mul_f32 v16, v16, v3
	v_dual_mul_f32 v21, v26, v21 :: v_dual_mul_f32 v20, v20, v28
	v_rcp_f32_e32 v27, v23
	s_delay_alu instid0(VALU_DEP_2)
	v_dual_mul_f32 v30, v15, v15 :: v_dual_mul_f32 v16, v13, v16
	v_dual_mul_f32 v26, v11, v12 :: v_dual_add_f32 v2, v18, v2
	v_dual_sub_f32 v28, v15, v11 :: v_dual_add_f32 v18, v9, v14
	v_dual_mul_f32 v22, v22, v3 :: v_dual_mul_f32 v14, v13, v14
	v_div_scale_f32 v31, null, v11, v11, v19
	v_div_scale_f32 v33, null, v11, v11, v21
	v_div_scale_f32 v35, null, v12, v12, v20
	v_dual_fma_f32 v38, -v11, v15, v30 :: v_dual_mul_f32 v16, v37, v16
	v_fma_f32 v39, -v23, v27, 1.0
	v_mov_b32_dpp v40, v2 quad_perm:[1,0,3,2] row_mask:0xf bank_mask:0xf
	v_fma_f32 v3, v9, v3, -v14
	v_rcp_f32_e32 v9, v31
	v_dual_mul_f32 v13, v13, v22 :: v_dual_fmac_f32 v38, v11, v11
	v_rcp_f32_e32 v14, v33
	v_rcp_f32_e32 v22, v35
	v_div_scale_f32 v25, vcc_lo, v24, v11, v24
	v_dual_fmac_f32 v27, v39, v27 :: v_dual_add_f32 v37, v2, v40
	v_mul_f32_e32 v2, v41, v13
	v_fma_f32 v40, -v31, v9, 1.0
	v_mul_f32_e32 v13, v29, v3
	v_div_scale_f32 v3, null, v12, v12, v16
	v_fma_f32 v41, -v33, v14, 1.0
	v_fma_f32 v42, -v35, v22, 1.0
	v_mul_f32_e32 v39, v25, v27
	s_delay_alu instid0(VALU_DEP_4)
	v_rcp_f32_e32 v43, v3
	v_div_scale_f32 v44, null, v26, v26, v2
	v_div_scale_f32 v32, s0, v19, v11, v19
	v_div_scale_f32 v34, s1, v21, v11, v21
	v_dual_fmac_f32 v9, v40, v9 :: v_dual_fmac_f32 v14, v41, v14
	v_dual_fmac_f32 v22, v42, v22 :: v_dual_fma_f32 v48, -v23, v39, v25
	v_div_scale_f32 v46, null, v11, v11, v13
	v_rcp_f32_e32 v40, v44
	v_div_scale_f32 v36, s2, v20, v12, v20
	s_delay_alu instid0(VALU_DEP_3)
	v_dual_fmac_f32 v39, v48, v27 :: v_dual_mul_f32 v49, v34, v14
	v_mul_f32_e32 v42, v32, v9
	v_fma_f32 v48, -v3, v43, 1.0
	v_rcp_f32_e32 v41, v46
	v_div_scale_f32 v29, s3, v16, v12, v16
	v_dual_mul_f32 v50, v36, v22 :: v_dual_fma_f32 v23, -v23, v39, v25
	s_delay_alu instid0(VALU_DEP_3) | instskip(SKIP_2) | instid1(VALU_DEP_4)
	v_dual_fma_f32 v25, -v31, v42, v32 :: v_dual_fmac_f32 v43, v48, v43
	v_fma_f32 v51, -v44, v40, 1.0
	v_div_scale_f32 v45, s4, v2, v26, v2
	v_dual_fma_f32 v48, -v33, v49, v34 :: v_dual_fma_f32 v52, -v35, v50, v36
	s_delay_alu instid0(VALU_DEP_4) | instskip(SKIP_2) | instid1(VALU_DEP_4)
	v_fmac_f32_e32 v42, v25, v9
	v_fma_f32 v53, -v46, v41, 1.0
	v_div_fmas_f32 v23, v23, v27, v39
	v_dual_mul_f32 v25, v29, v43 :: v_dual_fmac_f32 v49, v48, v14
	v_dual_fmac_f32 v40, v51, v40 :: v_dual_fmac_f32 v50, v52, v22
	v_div_scale_f32 v47, s5, v13, v11, v13
	v_fmac_f32_e32 v41, v53, v41
	v_div_fixup_f32 v23, v23, v11, v24
	v_fma_f32 v24, -v31, v42, v32
	v_dual_fma_f32 v27, -v3, v25, v29 :: v_dual_mul_f32 v32, v45, v40
	s_mov_b32 vcc_lo, s0
	v_dual_fma_f32 v31, -v33, v49, v34 :: v_dual_fma_f32 v33, -v35, v50, v36
	v_mul_f32_e32 v34, v47, v41
	v_div_fmas_f32 v9, v24, v9, v42
	v_fma_f32 v24, -v44, v32, v45
	v_fmac_f32_e32 v25, v27, v43
	s_delay_alu instid0(VALU_DEP_4) | instskip(NEXT) | instid1(VALU_DEP_4)
	v_dual_add_f32 v17, v23, v17 :: v_dual_fma_f32 v27, -v46, v34, v47
	v_div_fixup_f32 v9, v9, v11, v19
	s_delay_alu instid0(VALU_DEP_4) | instskip(SKIP_1) | instid1(VALU_DEP_3)
	v_fmac_f32_e32 v32, v24, v40
	s_mov_b32 vcc_lo, s3
	v_mov_b32_dpp v23, v17 quad_perm:[2,3,0,1] row_mask:0xf bank_mask:0xf
	v_fmac_f32_e32 v34, v27, v41
	s_delay_alu instid0(VALU_DEP_3) | instskip(NEXT) | instid1(VALU_DEP_3)
	v_dual_add_f32 v10, v10, v9 :: v_dual_fma_f32 v9, -v44, v32, v45
	v_dual_fma_f32 v3, -v3, v25, v29 :: v_dual_sub_f32 v17, v17, v23
	s_delay_alu instid0(VALU_DEP_3) | instskip(NEXT) | instid1(VALU_DEP_2)
	v_fma_f32 v19, -v46, v34, v47
	v_div_fmas_f32 v3, v3, v43, v25
	s_mov_b32 vcc_lo, s1
	s_delay_alu instid0(VALU_DEP_3)
	v_mul_f32_e32 v25, v11, v17
	v_div_fmas_f32 v24, v31, v14, v49
	s_mov_b32 vcc_lo, s4
	v_div_fixup_f32 v3, v3, v12, v16
	v_div_fmas_f32 v9, v9, v40, v32
	v_mov_b32_dpp v14, v10 quad_perm:[2,3,0,1] row_mask:0xf bank_mask:0xf
	v_mul_f32_e32 v16, v17, v17
	s_mov_b32 vcc_lo, s2
	v_dual_mul_f32 v27, 0x40400000, v17 :: v_dual_add_f32 v18, v18, v3
	v_div_fmas_f32 v22, v33, v22, v50
	s_mov_b32 vcc_lo, s5
	v_mul_f32_e32 v29, 4.0, v17
	v_div_fixup_f32 v21, v24, v11, v21
	v_div_fmas_f32 v19, v19, v41, v34
	v_div_fixup_f32 v9, v9, v26, v2
	v_dual_mul_f32 v24, v17, v16 :: v_dual_mul_f32 v26, v16, v15
	v_dual_mul_f32 v31, v11, v14 :: v_dual_mul_f32 v32, v12, v14
	v_pk_add_f32 v[2:3], v[10:11], v[14:15]
	s_delay_alu instid0(VALU_DEP_4)
	v_dual_mul_f32 v16, 0x40c00000, v16 :: v_dual_add_f32 v9, v37, v9
	v_div_fixup_f32 v12, v22, v12, v20
	v_div_fixup_f32 v14, v19, v11, v13
	v_dual_add_f32 v18, v21, v18 :: v_dual_mul_f32 v21, v24, v15
	v_dual_mul_f32 v19, v17, v24 :: v_dual_mul_f32 v20, v11, v26
	v_fma_f32 v22, v10, v15, -v31
	v_dual_fmac_f32 v32, v30, v10 :: v_dual_mul_f32 v24, v3, v3
	v_div_scale_f32 v10, null, v3, v3, v25
	v_mov_b32_dpp v13, v3 row_ror:4 row_mask:0xf bank_mask:0xf
	v_dual_mov_b32 v17, v3 :: v_dual_add_f32 v9, v12, v9
	v_mov_b32_dpp v12, v18 quad_perm:[2,3,0,1] row_mask:0xf bank_mask:0xf
	v_dual_mul_f32 v21, v11, v21 :: v_dual_mul_f32 v30, v16, v32
	s_delay_alu instid0(VALU_DEP_4)
	v_dual_mul_f32 v22, v27, v22 :: v_dual_mul_f32 v34, v13, v13
	v_dual_mul_f32 v27, v19, v15 :: v_dual_mov_b32 v19, v13
	v_rcp_f32_e32 v31, v10
	v_div_scale_f32 v32, null, v3, v3, v20
	v_dual_mul_f32 v16, v3, v24 :: v_dual_add_f32 v9, v14, v9
	v_dual_add_f32 v14, v18, v12 :: v_dual_mul_f32 v21, v28, v21
	v_dual_mul_f32 v27, v11, v27 :: v_dual_mul_f32 v11, v11, v12
	s_delay_alu instid0(VALU_DEP_4) | instskip(SKIP_4) | instid1(VALU_DEP_4)
	v_rcp_f32_e32 v12, v32
	v_div_scale_f32 v28, null, v3, v3, v22
	v_div_scale_f32 v36, null, v24, v24, v30
	v_fma_f32 v40, -v10, v31, 1.0
	v_dual_fma_f32 v39, -v3, v13, v34 :: v_dual_mul_f32 v27, v38, v27
	v_rcp_f32_e32 v38, v28
	v_div_scale_f32 v26, vcc_lo, v25, v3, v25
	v_mov_b32_dpp v41, v9 quad_perm:[2,3,0,1] row_mask:0xf bank_mask:0xf
	v_fma_f32 v11, v18, v15, -v11
	v_div_scale_f32 v15, null, v24, v24, v21
	v_rcp_f32_e32 v42, v36
	v_fmac_f32_e32 v31, v40, v31
	v_fma_f32 v40, -v32, v12, 1.0
	v_dual_fmac_f32 v39, v3, v3 :: v_dual_add_f32 v9, v9, v41
	v_div_scale_f32 v41, null, v16, v16, v27
	s_delay_alu instid0(VALU_DEP_3)
	v_fmac_f32_e32 v12, v40, v12
	v_fma_f32 v40, -v28, v38, 1.0
	v_mul_f32_e32 v11, v29, v11
	v_rcp_f32_e32 v29, v15
	v_div_scale_f32 v33, s0, v20, v3, v20
	v_mul_f32_e32 v44, v26, v31
	v_fma_f32 v45, -v36, v42, 1.0
	v_rcp_f32_e32 v46, v41
	v_fmac_f32_e32 v38, v40, v38
	v_div_scale_f32 v47, null, v3, v3, v11
	v_div_scale_f32 v35, s1, v22, v3, v22
	v_div_scale_f32 v37, s2, v30, v24, v30
	v_mul_f32_e32 v50, v33, v12
	v_fma_f32 v49, -v10, v44, v26
	v_fma_f32 v51, -v15, v29, 1.0
	v_fmac_f32_e32 v42, v45, v42
	v_rcp_f32_e32 v40, v47
	v_div_scale_f32 v18, s3, v21, v24, v21
	v_dual_fmac_f32 v44, v49, v31 :: v_dual_fma_f32 v45, -v32, v50, v33
	v_fmac_f32_e32 v29, v51, v29
	v_mul_f32_e32 v49, v35, v38
	v_fma_f32 v51, -v41, v46, 1.0
	v_mul_f32_e32 v52, v37, v42
	v_div_scale_f32 v43, s4, v27, v16, v27
	v_fma_f32 v10, -v10, v44, v26
	v_dual_fmac_f32 v50, v45, v12 :: v_dual_fma_f32 v45, -v28, v49, v35
	v_dual_mul_f32 v26, v18, v29 :: v_dual_fmac_f32 v46, v51, v46
	v_fma_f32 v51, -v36, v52, v37
	v_fma_f32 v53, -v47, v40, 1.0
	v_div_fmas_f32 v10, v10, v31, v44
	v_fma_f32 v31, -v32, v50, v33
	v_fmac_f32_e32 v49, v45, v38
	v_fma_f32 v32, -v15, v26, v18
	v_fmac_f32_e32 v52, v51, v42
	v_mul_f32_e32 v33, v43, v46
	v_div_scale_f32 v48, s5, v11, v3, v11
	v_fmac_f32_e32 v40, v53, v40
	s_mov_b32 vcc_lo, s0
	v_div_fixup_f32 v10, v10, v3, v25
	v_div_fmas_f32 v12, v31, v12, v50
	v_fma_f32 v25, -v28, v49, v35
	v_fmac_f32_e32 v26, v32, v29
	v_dual_fma_f32 v31, -v36, v52, v37 :: v_dual_fma_f32 v28, -v41, v33, v43
	v_dual_mul_f32 v32, v48, v40 :: v_dual_add_f32 v10, v10, v23
	v_div_fixup_f32 v12, v12, v3, v20
	s_delay_alu instid0(VALU_DEP_4) | instskip(NEXT) | instid1(VALU_DEP_3)
	v_fma_f32 v15, -v15, v26, v18
	v_dual_fmac_f32 v33, v28, v46 :: v_dual_fma_f32 v18, -v47, v32, v48
	s_mov_b32 vcc_lo, s3
	s_delay_alu instid0(VALU_DEP_3) | instskip(NEXT) | instid1(VALU_DEP_3)
	v_add_f32_e32 v2, v2, v12
	v_div_fmas_f32 v12, v15, v29, v26
	s_delay_alu instid0(VALU_DEP_3) | instskip(SKIP_2) | instid1(VALU_DEP_3)
	v_dual_fma_f32 v15, -v41, v33, v43 :: v_dual_fmac_f32 v32, v18, v40
	v_mov_b32_dpp v26, v10 row_ror:4 row_mask:0xf bank_mask:0xf
	s_mov_b32 vcc_lo, s1
	v_div_fixup_f32 v21, v12, v24, v21
	v_div_fmas_f32 v20, v25, v38, v49
	s_mov_b32 vcc_lo, s4
	v_mov_b32_dpp v12, v2 row_ror:4 row_mask:0xf bank_mask:0xf
	v_div_fmas_f32 v15, v15, v46, v33
	v_dual_fma_f32 v23, -v47, v32, v48 :: v_dual_mul_f32 v18, v2, v13
	v_sub_f32_e32 v10, v10, v26
	s_mov_b32 vcc_lo, s2
	v_div_fixup_f32 v20, v20, v3, v22
	v_div_fmas_f32 v22, v31, v42, v52
	s_mov_b32 vcc_lo, s5
	v_add_f32_e32 v21, v14, v21
	v_div_fixup_f32 v25, v15, v16, v27
	v_pk_add_f32 v[14:15], v[2:3], v[12:13]
	v_div_fmas_f32 v23, v23, v40, v32
	v_dual_mul_f32 v16, v3, v12 :: v_dual_mul_f32 v27, v24, v12
	v_dual_mul_f32 v12, v10, v10 :: v_dual_mul_f32 v28, v3, v10
	v_mul_f32_e32 v29, 4.0, v10
	v_div_fixup_f32 v22, v22, v24, v30
	v_add_f32_e32 v24, v20, v21
	v_pk_mul_f32 v[20:21], v[14:15], v[14:15]
	v_dual_add_f32 v9, v9, v25 :: v_dual_fmac_f32 v27, v34, v2
	v_div_fixup_f32 v30, v23, v3, v11
	v_dual_mul_f32 v11, v10, v12 :: v_dual_mul_f32 v20, v12, v13
	v_pk_add_f32 v[16:17], v[18:19], v[16:17] neg_lo:[0,1] neg_hi:[0,1]
	s_delay_alu instid0(VALU_DEP_4)
	v_dual_mul_f32 v12, 0x40c00000, v12 :: v_dual_add_f32 v9, v22, v9
	v_div_scale_f32 v18, null, v15, v15, v28
	v_dual_mov_b32 v2, 0x40400000 :: v_dual_mov_b32 v23, v15
	v_mov_b32_dpp v19, v15 row_ror:8 row_mask:0xf bank_mask:0xf
	v_mov_b32_dpp v22, v24 row_ror:4 row_mask:0xf bank_mask:0xf
	v_dual_mul_f32 v32, v15, v21 :: v_dual_mul_f32 v33, v10, v11
	v_dual_mul_f32 v20, v3, v20 :: v_dual_mul_f32 v27, v12, v27
	v_mul_f32_e32 v11, v11, v13
	v_rcp_f32_e32 v12, v18
	v_dual_mul_f32 v34, v19, v19 :: v_dual_mov_b32 v25, v19
	v_dual_add_f32 v9, v30, v9 :: v_dual_add_f32 v30, v24, v22
	v_mul_f32_e32 v22, v3, v22
	v_pk_mul_f32 v[10:11], v[2:3], v[10:11]
	s_delay_alu instid0(VALU_DEP_4)
	v_dual_mul_f32 v33, v33, v13 :: v_dual_fma_f32 v40, -v15, v19, v34
	v_div_scale_f32 v35, null, v15, v15, v20
	v_fma_f32 v41, -v18, v12, 1.0
	v_div_scale_f32 v37, null, v21, v21, v27
	v_fma_f32 v13, v24, v13, -v22
	v_pk_mul_f32 v[10:11], v[10:11], v[16:17]
	s_delay_alu instid0(VALU_DEP_4)
	v_dual_mul_f32 v16, v3, v33 :: v_dual_fmac_f32 v12, v41, v12
	v_rcp_f32_e32 v17, v35
	v_div_scale_f32 v31, vcc_lo, v28, v15, v28
	v_mov_b32_dpp v42, v9 row_ror:4 row_mask:0xf bank_mask:0xf
	v_rcp_f32_e32 v22, v37
	v_add_f32_e32 v33, v21, v40
	v_dual_mul_f32 v16, v39, v16 :: v_dual_mul_f32 v13, v29, v13
	v_div_scale_f32 v24, null, v15, v15, v10
	v_div_scale_f32 v39, null, v21, v21, v11
	v_dual_mov_b32 v3, v15 :: v_dual_add_f32 v9, v9, v42
	v_fma_f32 v42, -v35, v17, 1.0
	v_mul_f32_e32 v41, v31, v12
	v_fma_f32 v43, -v37, v22, 1.0
	v_rcp_f32_e32 v44, v24
	v_rcp_f32_e32 v45, v39
	v_div_scale_f32 v46, null, v32, v32, v16
	v_div_scale_f32 v48, null, v15, v15, v13
	v_div_scale_f32 v36, s0, v20, v15, v20
	v_fmac_f32_e32 v17, v42, v17
	v_dual_fma_f32 v50, -v18, v41, v31 :: v_dual_fmac_f32 v22, v43, v22
	v_div_scale_f32 v38, s1, v27, v21, v27
	v_rcp_f32_e32 v42, v46
	v_rcp_f32_e32 v43, v48
	s_delay_alu instid0(VALU_DEP_2)
	v_dual_fmac_f32 v41, v50, v12 :: v_dual_mul_f32 v50, v36, v17
	v_fma_f32 v51, -v24, v44, 1.0
	v_fma_f32 v52, -v39, v45, 1.0
	v_mul_f32_e32 v53, v38, v22
	v_div_scale_f32 v29, s2, v10, v15, v10
	v_div_scale_f32 v40, s3, v11, v21, v11
	v_dual_fma_f32 v18, -v18, v41, v31 :: v_dual_fma_f32 v31, -v35, v50, v36
	v_dual_fmac_f32 v44, v51, v44 :: v_dual_fmac_f32 v45, v52, v45
	v_fma_f32 v51, -v46, v42, 1.0
	v_fma_f32 v54, -v48, v43, 1.0
	v_fma_f32 v52, -v37, v53, v38
	v_div_scale_f32 v47, s4, v16, v32, v16
	v_div_fmas_f32 v12, v18, v12, v41
	v_dual_mul_f32 v18, v29, v44 :: v_dual_fmac_f32 v42, v51, v42
	v_dual_fmac_f32 v43, v54, v43 :: v_dual_fmac_f32 v50, v31, v17
	v_fmac_f32_e32 v53, v52, v22
	v_mul_f32_e32 v31, v40, v45
	v_div_scale_f32 v49, s5, v13, v15, v13
	v_div_fixup_f32 v12, v12, v15, v28
	s_delay_alu instid0(VALU_DEP_4) | instskip(NEXT) | instid1(VALU_DEP_4)
	v_dual_fma_f32 v28, -v35, v50, v36 :: v_dual_fma_f32 v37, -v37, v53, v38
	v_dual_fma_f32 v35, -v24, v18, v29 :: v_dual_fma_f32 v36, -v39, v31, v40
	s_delay_alu instid0(VALU_DEP_4) | instskip(SKIP_1) | instid1(VALU_DEP_2)
	v_dual_mul_f32 v41, v47, v42 :: v_dual_mul_f32 v38, v49, v43
	s_mov_b32 vcc_lo, s0
	v_dual_add_f32 v12, v12, v26 :: v_dual_fmac_f32 v18, v35, v44
	v_div_fmas_f32 v17, v28, v17, v50
	s_delay_alu instid0(VALU_DEP_3) | instskip(SKIP_2) | instid1(VALU_DEP_3)
	v_dual_fma_f32 v26, -v46, v41, v47 :: v_dual_fma_f32 v28, -v48, v38, v49
	v_fmac_f32_e32 v31, v36, v45
	s_mov_b32 vcc_lo, s2
	v_div_fixup_f32 v17, v17, v15, v20
	s_delay_alu instid0(VALU_DEP_3) | instskip(NEXT) | instid1(VALU_DEP_3)
	v_fmac_f32_e32 v41, v26, v42
	v_dual_fma_f32 v20, -v24, v18, v29 :: v_dual_fma_f32 v24, -v39, v31, v40
	s_delay_alu instid0(VALU_DEP_3) | instskip(SKIP_1) | instid1(VALU_DEP_3)
	v_dual_fmac_f32 v38, v28, v43 :: v_dual_add_f32 v14, v14, v17
	v_mov_b32_dpp v26, v12 row_ror:8 row_mask:0xf bank_mask:0xf
	v_div_fmas_f32 v17, v20, v44, v18
	s_delay_alu instid0(VALU_DEP_3) | instskip(SKIP_1) | instid1(VALU_DEP_3)
	v_dual_fma_f32 v18, -v46, v41, v47 :: v_dual_fma_f32 v20, -v48, v38, v49
	s_mov_b32 vcc_lo, s3
	v_sub_f32_e32 v12, v12, v26
	v_div_fmas_f32 v28, v24, v45, v31
	s_mov_b32 vcc_lo, s4
	v_div_fixup_f32 v29, v17, v15, v10
	v_div_fmas_f32 v10, v18, v42, v41
	v_mov_b32_dpp v18, v14 row_ror:8 row_mask:0xf bank_mask:0xf
	s_mov_b32 vcc_lo, s1
	v_dual_mul_f32 v24, v14, v19 :: v_dual_mul_f32 v17, v12, v12
	v_mul_f32_e32 v31, v15, v12
	v_div_fixup_f32 v28, v28, v21, v11
	v_div_fmas_f32 v35, v37, v22, v53
	v_div_fixup_f32 v16, v10, v32, v16
	v_dual_mul_f32 v22, v15, v18 :: v_dual_mul_f32 v32, v21, v18
	v_pk_add_f32 v[10:11], v[14:15], v[18:19]
	s_mov_b32 vcc_lo, s5
	v_dual_mul_f32 v18, v12, v17 :: v_dual_mul_f32 v36, v17, v19
	v_div_fmas_f32 v20, v20, v43, v38
	v_dual_add_f32 v9, v9, v16 :: v_dual_fmac_f32 v32, v34, v14
	v_div_scale_f32 v14, null, v11, v11, v31
	v_dual_mul_f32 v37, 0x40c00000, v17 :: v_dual_add_f32 v28, v30, v28
	v_pk_mul_f32 v[16:17], v[10:11], v[10:11]
	v_div_fixup_f32 v30, v20, v15, v13
	v_dual_mul_f32 v16, v12, v18 :: v_dual_mul_f32 v34, v15, v36
	v_mul_f32_e32 v13, v18, v19
	v_rcp_f32_e32 v18, v14
	v_div_fixup_f32 v27, v35, v21, v27
	v_pk_add_f32 v[20:21], v[24:25], v[22:23] neg_lo:[0,1] neg_hi:[0,1]
	v_add_f32_e32 v25, v29, v28
	v_pk_mul_f32 v[22:23], v[2:3], v[12:13]
	s_delay_alu instid0(VALU_DEP_4) | instskip(NEXT) | instid1(TRANS32_DEP_1)
	v_dual_mul_f32 v3, v16, v19 :: v_dual_add_f32 v9, v27, v9
	v_fma_f32 v13, -v14, v18, 1.0
	v_div_scale_f32 v16, null, v11, v11, v34
	v_mul_f32_e32 v27, v11, v17
	v_div_scale_f32 v24, vcc_lo, v31, v11, v31
	s_delay_alu instid0(VALU_DEP_4) | instskip(NEXT) | instid1(VALU_DEP_4)
	v_fmac_f32_e32 v18, v13, v18
	v_rcp_f32_e32 v13, v16
	v_mov_b32_dpp v29, v25 row_ror:8 row_mask:0xf bank_mask:0xf
	v_dual_add_f32 v9, v30, v9 :: v_dual_mul_f32 v3, v15, v3
	v_pk_mul_f32 v[20:21], v[22:23], v[20:21]
	s_delay_alu instid0(VALU_DEP_3) | instskip(SKIP_1) | instid1(TRANS32_DEP_1)
	v_dual_mul_f32 v22, v24, v18 :: v_dual_add_f32 v23, v25, v29
	v_mul_f32_e32 v15, v15, v29
	v_fma_f32 v29, -v16, v13, 1.0
	v_div_scale_f32 v28, s0, v34, v11, v34
	s_delay_alu instid0(VALU_DEP_4) | instskip(SKIP_1) | instid1(VALU_DEP_4)
	v_fma_f32 v35, -v14, v22, v24
	v_div_scale_f32 v36, null, v11, v11, v20
	v_fmac_f32_e32 v13, v29, v13
	v_mov_b32_dpp v30, v9 row_ror:8 row_mask:0xf bank_mask:0xf
	s_delay_alu instid0(VALU_DEP_4) | instskip(NEXT) | instid1(VALU_DEP_4)
	v_dual_fmac_f32 v22, v35, v18 :: v_dual_fma_f32 v15, v25, v19, -v15
	v_rcp_f32_e32 v19, v36
	s_delay_alu instid0(VALU_DEP_3) | instskip(NEXT) | instid1(VALU_DEP_2)
	v_dual_mul_f32 v25, v28, v13 :: v_dual_mul_f32 v3, v33, v3
	v_dual_fma_f32 v14, -v14, v22, v24 :: v_dual_mul_f32 v29, v37, v32
	v_dual_add_f32 v9, v9, v30 :: v_dual_mul_f32 v12, 4.0, v12
	s_delay_alu instid0(VALU_DEP_3) | instskip(NEXT) | instid1(TRANS32_DEP_1)
	v_fma_f32 v24, -v16, v25, v28
	v_fma_f32 v30, -v36, v19, 1.0
	s_delay_alu instid0(VALU_DEP_4) | instskip(SKIP_1) | instid1(VALU_DEP_3)
	v_div_fmas_f32 v14, v14, v18, v22
	v_div_scale_f32 v22, null, v17, v17, v21
	v_dual_fmac_f32 v25, v24, v13 :: v_dual_fmac_f32 v19, v30, v19
	v_div_scale_f32 v18, s1, v20, v11, v20
	v_mul_f32_e32 v24, v12, v15
	v_div_fixup_f32 v12, v14, v11, v31
	s_delay_alu instid0(VALU_DEP_3) | instskip(SKIP_3) | instid1(VALU_DEP_2)
	v_dual_fma_f32 v14, -v16, v25, v28 :: v_dual_mul_f32 v15, v18, v19
	v_rcp_f32_e32 v16, v22
	s_mov_b32 vcc_lo, s0
	v_div_scale_f32 v28, null, v27, v27, v3
	v_div_fmas_f32 v13, v14, v13, v25
	v_add_f32_e32 v26, v12, v26
	s_mov_b32 vcc_lo, s1
	s_delay_alu instid0(TRANS32_DEP_1)
	v_fma_f32 v25, -v22, v16, 1.0
	v_fma_f32 v14, -v36, v15, v18
	v_rcp_f32_e32 v30, v28
	v_div_fixup_f32 v12, v13, v11, v34
	v_div_scale_f32 v13, s0, v21, v17, v21
	v_fmac_f32_e32 v16, v25, v16
	v_div_scale_f32 v25, null, v17, v17, v29
	v_fmac_f32_e32 v15, v14, v19
	s_delay_alu instid0(TRANS32_DEP_1) | instskip(SKIP_1) | instid1(VALU_DEP_4)
	v_fma_f32 v14, -v28, v30, 1.0
	v_add_f32_e32 v10, v10, v12
	v_rcp_f32_e32 v31, v25
	v_div_scale_f32 v34, s1, v29, v17, v29
	v_dual_fma_f32 v12, -v36, v15, v18 :: v_dual_mul_f32 v18, v13, v16
	ds_swizzle_b32 v36, v26 offset:swizzle(BROADCAST,32,15)
	v_div_fmas_f32 v15, v12, v19, v15
	v_fma_f32 v12, -v25, v31, 1.0
	v_fmac_f32_e32 v30, v14, v30
	v_div_scale_f32 v14, s2, v3, v27, v3
	s_mov_b32 vcc_lo, s0
	v_fmac_f32_e32 v31, v12, v31
	ds_swizzle_b32 v12, v10 offset:swizzle(BROADCAST,32,15)
	v_mul_f32_e32 v19, v14, v30
	s_delay_alu instid0(VALU_DEP_1) | instskip(NEXT) | instid1(VALU_DEP_1)
	v_dual_fma_f32 v32, -v22, v18, v13 :: v_dual_fma_f32 v33, -v28, v19, v14
	v_fmac_f32_e32 v18, v32, v16
	v_div_scale_f32 v32, null, v11, v11, v24
	s_delay_alu instid0(VALU_DEP_3) | instskip(NEXT) | instid1(VALU_DEP_2)
	v_dual_fmac_f32 v19, v33, v30 :: v_dual_mul_f32 v33, v34, v31
	v_rcp_f32_e32 v35, v32
	s_delay_alu instid0(VALU_DEP_3)
	v_fma_f32 v22, -v22, v18, v13
	ds_swizzle_b32 v13, v11 offset:swizzle(BROADCAST,32,15)
	v_fma_f32 v14, -v28, v19, v14
	v_div_fmas_f32 v16, v22, v16, v18
	v_fma_f32 v37, -v32, v35, 1.0
	s_mov_b32 vcc_lo, s2
	v_div_scale_f32 v22, s0, v24, v11, v24
	v_div_fmas_f32 v19, v14, v30, v19
	s_wait_dscnt 0x2
	v_dual_fmac_f32 v35, v37, v35 :: v_dual_sub_f32 v14, v26, v36
	v_fma_f32 v18, -v25, v33, v34
	v_div_fixup_f32 v16, v16, v17, v21
	v_div_fixup_f32 v3, v19, v27, v3
	s_delay_alu instid0(VALU_DEP_4) | instskip(NEXT) | instid1(VALU_DEP_4)
	v_dual_mul_f32 v28, v22, v35 :: v_dual_mul_f32 v26, v11, v14
	v_fmac_f32_e32 v33, v18, v31
	s_mov_b32 vcc_lo, s1
	s_delay_alu instid0(VALU_DEP_3)
	v_dual_add_f32 v3, v9, v3 :: v_dual_add_f32 v16, v23, v16
	s_wait_dscnt 0x0
	v_pk_add_f32 v[18:19], v[10:11], v[12:13]
	v_fma_f32 v21, -v25, v33, v34
	v_dual_fma_f32 v25, -v32, v28, v22 :: v_dual_mul_f32 v30, v14, v14
	v_mul_f32_e32 v37, v13, v13
	s_delay_alu instid0(VALU_DEP_4) | instskip(NEXT) | instid1(VALU_DEP_4)
	v_div_scale_f32 v27, null, v19, v19, v26
	v_div_fmas_f32 v21, v21, v31, v33
	s_delay_alu instid0(VALU_DEP_4)
	v_fmac_f32_e32 v28, v25, v35
	v_div_fixup_f32 v25, v15, v11, v20
	s_mov_b32 vcc_lo, s0
	v_mul_f32_e32 v20, v10, v13
	v_div_fixup_f32 v9, v21, v17, v29
	v_rcp_f32_e32 v29, v27
	v_fma_f32 v15, -v32, v28, v22
	v_dual_mul_f32 v22, v11, v12 :: v_dual_mov_b32 v21, v13
	s_delay_alu instid0(VALU_DEP_3) | instskip(SKIP_1) | instid1(VALU_DEP_4)
	v_add_f32_e32 v9, v9, v3
	v_add_f32_e32 v16, v25, v16
	v_div_fmas_f32 v28, v15, v35, v28
	s_delay_alu instid0(TRANS32_DEP_1) | instskip(SKIP_3) | instid1(VALU_DEP_4)
	v_fma_f32 v3, -v27, v29, 1.0
	v_mul_f32_e32 v15, v30, v13
	v_mul_f32_e32 v31, v14, v30
	v_div_scale_f32 v32, vcc_lo, v26, v19, v26
	v_fmac_f32_e32 v29, v3, v29
	s_delay_alu instid0(VALU_DEP_4) | instskip(NEXT) | instid1(VALU_DEP_4)
	v_dual_mov_b32 v3, v11 :: v_dual_mul_f32 v33, v11, v15
	v_mul_f32_e32 v15, v31, v13
	v_mov_b32_e32 v23, v11
	v_div_fixup_f32 v24, v28, v11, v24
	v_mul_f32_e32 v28, v32, v29
	v_div_scale_f32 v34, null, v19, v19, v33
	v_pk_mul_f32 v[2:3], v[2:3], v[14:15]
	v_pk_add_f32 v[20:21], v[20:21], v[22:23] neg_lo:[0,1] neg_hi:[0,1]
	v_cmp_gt_f32_e64 s0, v5, v8
	s_delay_alu instid0(VALU_DEP_4) | instskip(SKIP_1) | instid1(VALU_DEP_3)
	v_rcp_f32_e32 v15, v34
	v_dual_mul_f32 v31, v14, v31 :: v_dual_mul_f32 v12, v17, v12
	v_pk_mul_f32 v[2:3], v[2:3], v[20:21]
	s_delay_alu instid0(VALU_DEP_3) | instskip(SKIP_1) | instid1(TRANS32_DEP_1)
	v_dual_cndmask_b32 v5, v8, v5, s0 :: v_dual_fma_f32 v21, -v27, v28, v32
	v_mul_f32_e32 v14, 4.0, v14
	v_fma_f32 v22, -v34, v15, 1.0
	s_delay_alu instid0(VALU_DEP_4) | instskip(SKIP_2) | instid1(VALU_DEP_4)
	v_div_scale_f32 v23, null, v19, v19, v2
	v_add_f32_e32 v20, v24, v9
	v_pk_mul_f32 v[8:9], v[18:19], v[18:19]
	v_dual_fmac_f32 v28, v21, v29 :: v_dual_fmac_f32 v15, v22, v15
	v_div_scale_f32 v21, s0, v33, v19, v33
	v_rcp_f32_e32 v8, v23
	s_delay_alu instid0(VALU_DEP_3) | instskip(NEXT) | instid1(VALU_DEP_2)
	v_mul_f32_e32 v25, v19, v9
	v_dual_fma_f32 v27, -v27, v28, v32 :: v_dual_mul_f32 v32, v21, v15
	ds_swizzle_b32 v24, v16 offset:swizzle(BROADCAST,32,15)
	v_div_scale_f32 v38, s1, v2, v19, v2
	v_fma_f32 v35, -v23, v8, 1.0
	v_div_fmas_f32 v27, v27, v29, v28
	v_dual_fma_f32 v28, -v34, v32, v21 :: v_dual_mul_f32 v29, v31, v13
	v_fma_f32 v31, -v11, v13, v37
	s_mov_b32 vcc_lo, s0
	ds_swizzle_b32 v22, v20 offset:swizzle(BROADCAST,32,15)
	v_fmac_f32_e32 v32, v28, v15
	v_dual_fmac_f32 v8, v35, v8 :: v_dual_add_f32 v31, v17, v31
	v_div_scale_f32 v35, null, v9, v9, v3
	v_dual_mul_f32 v29, v11, v29 :: v_dual_fmac_f32 v12, v37, v10
	s_delay_alu instid0(VALU_DEP_4) | instskip(NEXT) | instid1(VALU_DEP_3)
	v_fma_f32 v21, -v34, v32, v21
	v_rcp_f32_e32 v17, v35
	v_div_scale_f32 v37, s2, v3, v9, v3
	s_delay_alu instid0(VALU_DEP_3) | instskip(SKIP_3) | instid1(TRANS32_DEP_1)
	v_dual_mul_f32 v28, v31, v29 :: v_dual_mul_f32 v29, v38, v8
	s_wait_dscnt 0x1
	v_mul_f32_e32 v11, v11, v24
	v_div_fmas_f32 v15, v21, v15, v32
	v_fma_f32 v31, -v35, v17, 1.0
	v_div_scale_f32 v10, null, v25, v25, v28
	v_mul_f32_e32 v30, 0x40c00000, v30
	s_mov_b32 vcc_lo, s1
	s_delay_alu instid0(VALU_DEP_3) | instskip(NEXT) | instid1(VALU_DEP_3)
	v_fmac_f32_e32 v17, v31, v17
	v_rcp_f32_e32 v34, v10
	s_delay_alu instid0(VALU_DEP_2) | instskip(SKIP_1) | instid1(VALU_DEP_2)
	v_dual_mul_f32 v12, v30, v12 :: v_dual_fma_f32 v30, -v23, v29, v38
	v_dual_fma_f32 v11, v16, v13, -v11 :: v_dual_add_f32 v16, v16, v24
	v_div_scale_f32 v31, null, v9, v9, v12
	s_delay_alu instid0(TRANS32_DEP_1) | instskip(NEXT) | instid1(VALU_DEP_4)
	v_fma_f32 v39, -v10, v34, 1.0
	v_dual_fmac_f32 v29, v30, v8 :: v_dual_mul_f32 v30, v37, v17
	s_delay_alu instid0(VALU_DEP_3) | instskip(NEXT) | instid1(VALU_DEP_2)
	v_rcp_f32_e32 v13, v31
	v_dual_fmac_f32 v34, v39, v34 :: v_dual_mul_f32 v11, v14, v11
	s_delay_alu instid0(VALU_DEP_2) | instskip(SKIP_1) | instid1(TRANS32_DEP_1)
	v_fma_f32 v40, -v35, v30, v37
	v_div_scale_f32 v14, s3, v28, v25, v28
	v_fma_f32 v39, -v31, v13, 1.0
	s_delay_alu instid0(VALU_DEP_4) | instskip(NEXT) | instid1(VALU_DEP_2)
	v_div_scale_f32 v41, null, v19, v19, v11
	v_dual_mul_f32 v42, v14, v34 :: v_dual_fmac_f32 v13, v39, v13
	s_delay_alu instid0(VALU_DEP_2) | instskip(SKIP_2) | instid1(VALU_DEP_2)
	v_rcp_f32_e32 v43, v41
	v_div_scale_f32 v39, s4, v12, v9, v12
	v_fma_f32 v21, -v23, v29, v38
	v_dual_fma_f32 v23, -v10, v42, v14 :: v_dual_mul_f32 v32, v39, v13
	s_delay_alu instid0(TRANS32_DEP_1) | instskip(SKIP_1) | instid1(VALU_DEP_3)
	v_fma_f32 v38, -v41, v43, 1.0
	v_fmac_f32_e32 v30, v40, v17
	v_fmac_f32_e32 v42, v23, v34
	s_delay_alu instid0(VALU_DEP_4) | instskip(NEXT) | instid1(VALU_DEP_4)
	v_fma_f32 v23, -v31, v32, v39
	v_fmac_f32_e32 v43, v38, v43
	v_div_fmas_f32 v8, v21, v8, v29
	v_div_scale_f32 v29, s0, v11, v19, v11
	v_fma_f32 v21, -v35, v30, v37
	v_dual_fmac_f32 v32, v23, v13 :: v_dual_fma_f32 v10, -v10, v42, v14
	s_delay_alu instid0(VALU_DEP_3)
	v_mul_f32_e32 v14, v29, v43
	s_mov_b32 vcc_lo, s2
	v_div_fixup_f32 v2, v8, v19, v2
	v_div_fmas_f32 v17, v21, v17, v30
	s_mov_b32 vcc_lo, s3
	v_fma_f32 v21, -v41, v14, v29
	v_div_fmas_f32 v10, v10, v34, v42
	s_wait_dscnt 0x0
	v_dual_add_f32 v20, v20, v22 :: v_dual_fma_f32 v22, -v31, v32, v39
	s_mov_b32 vcc_lo, s4
	v_fmac_f32_e32 v14, v21, v43
	v_div_fixup_f32 v10, v10, v25, v28
	v_div_fixup_f32 v3, v17, v9, v3
	v_div_fmas_f32 v13, v22, v13, v32
	s_mov_b32 vcc_lo, s0
	v_fma_f32 v17, -v41, v14, v29
	v_div_fixup_f32 v21, v27, v19, v26
	v_add_f32_e32 v10, v20, v10
	v_div_fixup_f32 v9, v13, v9, v12
	v_add_f32_e32 v3, v16, v3
	v_div_fmas_f32 v12, v17, v43, v14
	v_div_fixup_f32 v13, v15, v19, v33
	s_mov_b32 s0, exec_lo
	v_dual_add_f32 v8, v9, v10 :: v_dual_mov_b32 v10, 0
	s_delay_alu instid0(VALU_DEP_3) | instskip(NEXT) | instid1(VALU_DEP_3)
	v_div_fixup_f32 v9, v12, v19, v11
	v_dual_add_f32 v11, v21, v36 :: v_dual_add_f32 v12, v18, v13
	v_add_f32_e32 v13, v2, v3
	ds_bpermute_b32 v2, v10, v19 offset:124
	v_add_f32_e32 v8, v9, v8
	ds_bpermute_b32 v3, v10, v4 offset:124
	ds_bpermute_b32 v4, v10, v5 offset:124
	ds_bpermute_b32 v5, v10, v11 offset:124
	ds_bpermute_b32 v15, v10, v12 offset:124
	ds_bpermute_b32 v14, v10, v13 offset:124
	ds_bpermute_b32 v12, v10, v8 offset:124
	v_cmpx_eq_u32_e32 0, v1
	s_cbranch_execz .LBB0_3
; %bb.2:
	v_lshrrev_b32_e32 v8, 5, v0
	s_delay_alu instid0(VALU_DEP_1)
	v_mul_u32_u24_e32 v8, 28, v8
	s_wait_dscnt 0x5
	ds_store_2addr_b32 v8, v2, v3 offset0:56 offset1:57
	s_wait_dscnt 0x4
	ds_store_2addr_b32 v8, v4, v5 offset0:58 offset1:59
	;; [unrolled: 2-line block ×3, first 2 shown]
	s_wait_dscnt 0x3
	ds_store_b32 v8, v12 offset:248
.LBB0_3:
	s_or_b32 exec_lo, exec_lo, s0
	s_delay_alu instid0(SALU_CYCLE_1)
	s_mov_b32 s5, exec_lo
	s_wait_dscnt 0x0
	s_barrier_signal -1
	s_barrier_wait -1
	v_cmpx_gt_u32_e32 32, v0
	s_cbranch_execz .LBB0_5
; %bb.4:
	v_dual_lshlrev_b32 v28, 2, v1 :: v_dual_bitop2_b32 v4, 7, v1 bitop3:0x40
	s_delay_alu instid0(VALU_DEP_1) | instskip(SKIP_1) | instid1(VALU_DEP_1)
	v_cmp_ne_u32_e32 vcc_lo, 7, v4
	v_add_co_ci_u32_e64 v2, null, 0, v1, vcc_lo
	v_lshlrev_b32_e32 v13, 2, v2
	v_mul_u32_u24_e32 v5, 28, v4
	ds_load_2addr_b32 v[16:17], v5 offset0:56 offset1:57
	ds_load_2addr_b32 v[10:11], v5 offset0:58 offset1:59
	v_cmp_gt_u32_e32 vcc_lo, 6, v4
	ds_load_2addr_b32 v[18:19], v5 offset0:60 offset1:61
	ds_load_b32 v27, v5 offset:248
	v_mov_b32_e32 v26, 0x40400000
	v_or_b32_e32 v53, 16, v28
	v_cndmask_b32_e64 v4, 0, 2, vcc_lo
	s_delay_alu instid0(VALU_DEP_1)
	v_add_lshl_u32 v52, v4, v1, 2
	s_wait_dscnt 0x3
	ds_bpermute_b32 v21, v13, v16
	s_wait_dscnt 0x3
	ds_bpermute_b32 v20, v13, v11
	v_dual_mov_b32 v2, v11 :: v_dual_mov_b32 v3, v16
	ds_bpermute_b32 v30, v13, v17
	ds_bpermute_b32 v32, v13, v10
	s_wait_dscnt 0x4
	ds_bpermute_b32 v33, v13, v27
	ds_bpermute_b32 v15, v13, v18
	s_wait_dscnt 0x5
	v_dual_mov_b32 v29, v16 :: v_dual_mov_b32 v39, v21
	s_wait_dscnt 0x4
	v_pk_add_f32 v[22:23], v[20:21], v[2:3] neg_lo:[0,1] neg_hi:[0,1]
	v_pk_add_f32 v[8:9], v[2:3], v[20:21]
	v_pk_mul_f32 v[34:35], v[20:21], v[20:21]
	s_delay_alu instid0(VALU_DEP_3) | instskip(SKIP_1) | instid1(VALU_DEP_3)
	v_dual_mov_b32 v34, v21 :: v_dual_mul_f32 v2, v22, v21
	s_wait_dscnt 0x1
	v_dual_add_f32 v56, v27, v33 :: v_dual_mov_b32 v25, v9
	s_wait_dscnt 0x0
	v_dual_mul_f32 v28, v16, v15 :: v_dual_mov_b32 v44, v22
	v_div_scale_f32 v3, null, v9, v9, v2
	v_mov_b32_e32 v20, v22
	s_delay_alu instid0(VALU_DEP_2) | instskip(SKIP_1) | instid1(TRANS32_DEP_1)
	v_rcp_f32_e32 v8, v3
	v_nop
	v_fma_f32 v12, -v3, v8, 1.0
	s_delay_alu instid0(VALU_DEP_1) | instskip(SKIP_3) | instid1(VALU_DEP_1)
	v_fmac_f32_e32 v8, v12, v8
	v_div_scale_f32 v14, vcc_lo, v2, v9, v2
	ds_bpermute_b32 v12, v52, v9
	v_mul_f32_e32 v4, v14, v8
	v_fma_f32 v5, -v3, v4, v14
	s_wait_dscnt 0x0
	s_delay_alu instid0(VALU_DEP_1) | instskip(NEXT) | instid1(VALU_DEP_1)
	v_dual_fmac_f32 v4, v5, v8 :: v_dual_mov_b32 v5, v12
	v_fma_f32 v3, -v3, v4, v14
	ds_bpermute_b32 v14, v13, v19
	v_sub_f32_e32 v38, v9, v12
	v_div_fmas_f32 v3, v3, v8, v4
	v_dual_mov_b32 v4, v11 :: v_dual_mov_b32 v8, v19
	v_cmp_gt_f32_e32 vcc_lo, v17, v30
	v_mov_b32_e32 v31, v16
	s_delay_alu instid0(VALU_DEP_4) | instskip(SKIP_3) | instid1(VALU_DEP_4)
	v_div_fixup_f32 v24, v3, v9, v2
	v_mov_b64_e32 v[2:3], 0x40c0000040800000
	v_cndmask_b32_e32 v54, v17, v30, vcc_lo
	v_cmp_lt_f32_e32 vcc_lo, v10, v32
	v_pk_add_f32 v[4:5], v[4:5], v[24:25]
	v_dual_mul_f32 v25, v16, v16 :: v_dual_mov_b32 v24, v16
	v_dual_mov_b32 v17, v9 :: v_dual_cndmask_b32 v55, v10, v32, vcc_lo
	v_mov_b32_e32 v10, v21
	ds_bpermute_b32 v11, v52, v4
	v_dual_fma_f32 v13, -v16, v21, v25 :: v_dual_mov_b32 v33, v9
	s_wait_dscnt 0x1
	v_pk_add_f32 v[36:37], v[8:9], v[14:15]
	v_dual_mov_b32 v8, v22 :: v_dual_mov_b32 v32, v21
	s_delay_alu instid0(VALU_DEP_3) | instskip(SKIP_2) | instid1(VALU_DEP_2)
	v_add_f32_e32 v57, v35, v13
	v_pk_mul_f32 v[34:35], v[18:19], v[34:35] op_sel:[1,0] op_sel_hi:[0,1]
	v_dual_mov_b32 v13, v9 :: v_dual_mov_b32 v30, v12
	v_pk_fma_f32 v[24:25], v[24:25], v[14:15], v[34:35]
	v_pk_fma_f32 v[34:35], v[16:17], v[14:15], v[34:35] neg_lo:[0,0,1] neg_hi:[0,0,1]
	s_wait_dscnt 0x0
	s_delay_alu instid0(VALU_DEP_2) | instskip(SKIP_3) | instid1(VALU_DEP_1)
	v_dual_mov_b32 v35, v25 :: v_dual_sub_f32 v40, v11, v4
	ds_bpermute_b32 v11, v53, v5
	v_mul_f32_e32 v41, v40, v40
	v_mul_f32_e32 v58, v40, v12
	v_div_scale_f32 v14, null, v5, v5, v58
	s_delay_alu instid0(VALU_DEP_1) | instskip(SKIP_4) | instid1(VALU_DEP_2)
	v_rcp_f32_e32 v59, v14
	s_wait_dscnt 0x0
	v_pk_mul_f32 v[42:43], v[18:19], v[10:11]
	v_dual_mov_b32 v43, v21 :: v_dual_mul_f32 v45, v40, v41
	v_mov_b32_e32 v10, v5
	v_pk_add_f32 v[28:29], v[28:29], v[42:43] neg_lo:[0,1] neg_hi:[0,1]
	s_delay_alu instid0(VALU_DEP_3) | instskip(SKIP_1) | instid1(VALU_DEP_4)
	v_pk_mul_f32 v[24:25], v[8:9], v[44:45]
	v_pk_mul_f32 v[42:43], v[12:13], v[12:13] op_sel_hi:[1,0]
	v_pk_mul_f32 v[48:49], v[4:5], v[10:11] op_sel:[1,0]
	s_delay_alu instid0(VALU_DEP_3) | instskip(SKIP_1) | instid1(VALU_DEP_2)
	v_pk_mul_f32 v[46:47], v[8:9], v[24:25]
	v_mul_f32_e32 v8, v9, v41
	v_pk_mul_f32 v[50:51], v[22:23], v[46:47]
	v_dual_mov_b32 v51, v9 :: v_dual_mov_b32 v23, v24
	s_delay_alu instid0(VALU_DEP_3) | instskip(NEXT) | instid1(VALU_DEP_2)
	v_mul_f32_e32 v47, v8, v12
	v_pk_mul_f32 v[50:51], v[16:17], v[50:51]
	v_mul_f32_e32 v27, v16, v46
	v_pk_mul_f32 v[16:17], v[30:31], v[24:25] op_sel:[0,1] op_sel_hi:[1,0]
	s_delay_alu instid0(VALU_DEP_3) | instskip(SKIP_1) | instid1(VALU_DEP_3)
	v_pk_mul_f32 v[24:25], v[50:51], v[32:33]
	v_mul_f32_e32 v19, v40, v45
	v_pk_mul_f32 v[16:17], v[16:17], v[38:39]
	v_mov_b32_e32 v50, v9
	s_delay_alu instid0(VALU_DEP_4) | instskip(NEXT) | instid1(VALU_DEP_4)
	v_dual_mul_f32 v24, v57, v24 :: v_dual_mov_b32 v45, v48
	v_mul_f32_e32 v8, v9, v19
	v_fma_f32 v19, -v14, v59, 1.0
	s_delay_alu instid0(VALU_DEP_3) | instskip(NEXT) | instid1(VALU_DEP_3)
	v_div_scale_f32 v38, vcc_lo, v24, v25, v24
	v_dual_mul_f32 v44, v8, v12 :: v_dual_sub_f32 v8, v51, v43
	v_pk_mul_f32 v[20:21], v[26:27], v[20:21]
	s_delay_alu instid0(VALU_DEP_2) | instskip(NEXT) | instid1(VALU_DEP_2)
	v_pk_fma_f32 v[26:27], v[12:13], v[12:13], v[8:9] op_sel_hi:[1,0,0]
	v_pk_mul_f32 v[20:21], v[20:21], v[28:29]
	v_div_scale_f32 v28, null, v25, v25, v24
	v_mov_b32_e32 v27, v5
	v_pk_mul_f32 v[22:23], v[22:23], v[2:3]
	s_delay_alu instid0(VALU_DEP_4) | instskip(NEXT) | instid1(VALU_DEP_4)
	v_div_scale_f32 v29, null, v51, v51, v21
	v_rcp_f32_e32 v31, v28
	v_div_scale_f32 v30, null, v9, v9, v20
	s_delay_alu instid0(VALU_DEP_2) | instskip(SKIP_2) | instid1(VALU_DEP_3)
	v_rcp_f32_e32 v32, v29
	v_pk_mul_f32 v[22:23], v[22:23], v[34:35]
	v_pk_mul_f32 v[26:27], v[26:27], v[44:45]
	v_rcp_f32_e32 v8, v30
	s_delay_alu instid0(TRANS32_DEP_3) | instskip(NEXT) | instid1(VALU_DEP_3)
	v_fma_f32 v13, -v28, v31, 1.0
	v_div_scale_f32 v33, null, v51, v51, v23
	s_delay_alu instid0(TRANS32_DEP_2) | instskip(NEXT) | instid1(VALU_DEP_3)
	v_fma_f32 v35, -v29, v32, 1.0
	v_fmac_f32_e32 v31, v13, v31
	v_div_scale_f32 v13, s0, v21, v51, v21
	s_delay_alu instid0(VALU_DEP_4) | instskip(NEXT) | instid1(VALU_DEP_3)
	v_rcp_f32_e32 v34, v33
	v_fmac_f32_e32 v32, v35, v32
	v_fma_f32 v35, -v30, v8, 1.0
	s_delay_alu instid0(VALU_DEP_2) | instskip(SKIP_1) | instid1(VALU_DEP_2)
	v_dual_mul_f32 v39, v38, v31 :: v_dual_mul_f32 v44, v13, v32
	v_fmac_f32_e32 v59, v19, v59
	v_dual_fmac_f32 v8, v35, v8 :: v_dual_fma_f32 v19, -v28, v39, v38
	s_delay_alu instid0(TRANS32_DEP_1) | instskip(NEXT) | instid1(VALU_DEP_4)
	v_fma_f32 v43, -v33, v34, 1.0
	v_fma_f32 v35, -v29, v44, v13
	s_delay_alu instid0(VALU_DEP_1) | instskip(NEXT) | instid1(VALU_DEP_3)
	v_fmac_f32_e32 v44, v35, v32
	v_fmac_f32_e32 v34, v43, v34
	v_div_scale_f32 v35, s2, v20, v9, v20
	v_div_scale_f32 v43, s1, v58, v5, v58
	s_delay_alu instid0(VALU_DEP_4) | instskip(SKIP_1) | instid1(VALU_DEP_2)
	v_dual_fma_f32 v13, -v29, v44, v13 :: v_dual_fmac_f32 v39, v19, v31
	v_div_scale_f32 v19, null, v5, v5, v47
	v_fma_f32 v28, -v28, v39, v38
	v_div_scale_f32 v38, s3, v23, v51, v23
	s_delay_alu instid0(VALU_DEP_2) | instskip(NEXT) | instid1(VALU_DEP_2)
	v_div_fmas_f32 v39, v28, v31, v39
	v_mul_f32_e32 v28, v38, v34
	s_mov_b32 vcc_lo, s0
	v_div_fmas_f32 v13, v13, v32, v44
	s_mov_b32 vcc_lo, s2
	s_delay_alu instid0(VALU_DEP_2) | instskip(SKIP_3) | instid1(VALU_DEP_3)
	v_fma_f32 v32, -v33, v28, v38
	v_mul_f32_e32 v29, v35, v8
	v_div_scale_f32 v44, s0, v47, v5, v47
	v_div_fixup_f32 v21, v13, v51, v21
	v_dual_fmac_f32 v28, v32, v34 :: v_dual_fma_f32 v31, -v30, v29, v35
	v_div_scale_f32 v32, null, v9, v9, v17
	v_div_fixup_f32 v39, v39, v25, v24
	s_delay_alu instid0(VALU_DEP_3) | instskip(NEXT) | instid1(VALU_DEP_4)
	v_dual_fma_f32 v33, -v33, v28, v38 :: v_dual_mul_f32 v38, v43, v59
	v_fmac_f32_e32 v29, v31, v8
	v_rcp_f32_e32 v31, v19
	s_delay_alu instid0(VALU_DEP_1) | instskip(SKIP_1) | instid1(VALU_DEP_2)
	v_fma_f32 v30, -v30, v29, v35
	v_div_scale_f32 v35, null, v48, v48, v16
	v_div_fmas_f32 v8, v30, v8, v29
	v_rcp_f32_e32 v30, v32
	s_delay_alu instid0(TRANS32_DEP_2)
	v_fma_f32 v29, -v19, v31, 1.0
	s_mov_b32 vcc_lo, s3
	v_rcp_f32_e32 v13, v35
	v_div_fmas_f32 v45, v33, v34, v28
	v_div_fixup_f32 v20, v8, v9, v20
	v_dual_mov_b32 v8, v21 :: v_dual_fma_f32 v28, -v14, v38, v43
	v_fma_f32 v34, -v32, v30, 1.0
	v_fmac_f32_e32 v31, v29, v31
	v_div_scale_f32 v33, null, v9, v9, v22
	s_delay_alu instid0(VALU_DEP_4) | instskip(SKIP_1) | instid1(VALU_DEP_4)
	v_fmac_f32_e32 v38, v28, v59
	v_pk_add_f32 v[28:29], v[36:37], v[8:9]
	v_dual_fmac_f32 v30, v34, v30 :: v_dual_mul_f32 v8, v44, v31
	s_delay_alu instid0(VALU_DEP_4) | instskip(SKIP_1) | instid1(VALU_DEP_3)
	v_rcp_f32_e32 v36, v33
	v_div_fixup_f32 v23, v45, v51, v23
	v_pk_add_f32 v[20:21], v[20:21], v[28:29]
	v_div_scale_f32 v21, s3, v16, v48, v16
	v_dual_fma_f32 v34, -v19, v8, v44 :: v_dual_fma_f32 v37, -v14, v38, v43
	v_fma_f32 v14, -v35, v13, 1.0
	s_delay_alu instid0(VALU_DEP_2) | instskip(SKIP_1) | instid1(VALU_DEP_3)
	v_fmac_f32_e32 v8, v34, v31
	v_div_scale_f32 v34, s2, v17, v9, v17
	v_fmac_f32_e32 v13, v14, v13
	v_fma_f32 v14, -v33, v36, 1.0
	s_delay_alu instid0(VALU_DEP_3) | instskip(NEXT) | instid1(VALU_DEP_2)
	v_dual_mul_f32 v43, v34, v30 :: v_dual_fma_f32 v19, -v19, v8, v44
	v_dual_fmac_f32 v36, v14, v36 :: v_dual_mul_f32 v29, v21, v13
	s_delay_alu instid0(VALU_DEP_2) | instskip(NEXT) | instid1(VALU_DEP_1)
	v_fma_f32 v14, -v32, v43, v34
	v_dual_fmac_f32 v43, v14, v30 :: v_dual_fma_f32 v14, -v35, v29, v21
	s_delay_alu instid0(VALU_DEP_1)
	v_dual_fma_f32 v32, -v32, v43, v34 :: v_dual_fmac_f32 v29, v14, v13
	v_div_scale_f32 v14, vcc_lo, v22, v9, v22
	ds_bpermute_b32 v34, v52, v54
	v_dual_mul_f32 v28, v14, v36 :: v_dual_fma_f32 v21, -v35, v29, v21
	ds_bpermute_b32 v35, v52, v55
	v_fma_f32 v46, -v33, v28, v14
	s_delay_alu instid0(VALU_DEP_1) | instskip(NEXT) | instid1(VALU_DEP_1)
	v_fmac_f32_e32 v28, v46, v36
	v_fma_f32 v33, -v33, v28, v14
	ds_bpermute_b32 v14, v52, v20
	v_div_fmas_f32 v36, v33, v36, v28
	s_mov_b32 vcc_lo, s1
	v_mov_b32_e32 v28, v9
	v_div_fmas_f32 v37, v37, v59, v38
	s_mov_b32 vcc_lo, s0
	v_div_fmas_f32 v38, v19, v31, v8
	s_mov_b32 vcc_lo, s2
	v_mov_b32_e32 v31, v5
	v_div_fmas_f32 v8, v32, v30, v43
	s_mov_b32 vcc_lo, s3
	v_div_scale_f32 v43, null, v27, v27, v26
	v_div_fmas_f32 v13, v21, v13, v29
	v_mov_b32_e32 v21, v18
	v_div_fixup_f32 v17, v8, v9, v17
	s_wait_dscnt 0x2
	v_cmp_gt_f32_e32 vcc_lo, v54, v34
	v_mov_b32_e32 v8, v49
	v_div_fixup_f32 v16, v13, v48, v16
	s_wait_dscnt 0x0
	v_pk_add_f32 v[18:19], v[20:21], v[14:15]
	v_dual_mul_f32 v30, v11, v11 :: v_dual_cndmask_b32 v44, v54, v34, vcc_lo
	v_rcp_f32_e32 v54, v43
	v_cmp_lt_f32_e32 vcc_lo, v55, v35
	s_delay_alu instid0(VALU_DEP_3)
	v_pk_add_f32 v[16:17], v[18:19], v[16:17]
	v_mov_b32_e32 v19, v12
	v_pk_fma_f32 v[32:33], v[4:5], v[10:11], v[8:9] op_sel:[1,0,0] neg_lo:[0,0,1] neg_hi:[0,0,1]
	v_dual_mov_b32 v21, v42 :: v_dual_cndmask_b32 v46, v55, v35
	ds_bpermute_b32 v18, v52, v17
	v_fma_f32 v13, -v43, v54, 1.0
	v_mov_b32_e32 v33, v11
	v_div_scale_f32 v10, vcc_lo, v26, v27, v26
	v_mov_b32_e32 v29, v17
	s_delay_alu instid0(VALU_DEP_4)
	v_fmac_f32_e32 v54, v13, v54
	v_mul_f32_e32 v8, 0x40400000, v40
	v_pk_add_f32 v[32:33], v[30:31], v[32:33]
	v_mov_b32_e32 v13, v17
	v_pk_mul_f32 v[34:35], v[40:41], v[2:3]
	v_mul_f32_e32 v31, v10, v54
	ds_bpermute_b32 v55, v53, v44
	ds_bpermute_b32 v49, v53, v46
	v_pk_mul_f32 v[12:13], v[20:21], v[12:13]
	s_wait_dscnt 0x2
	v_dual_fma_f32 v40, -v43, v31, v10 :: v_dual_mov_b32 v15, v18
	v_pk_mul_f32 v[24:25], v[28:29], v[18:19]
	v_add_f32_e32 v19, v56, v39
	s_delay_alu instid0(VALU_DEP_3) | instskip(NEXT) | instid1(VALU_DEP_3)
	v_pk_fma_f32 v[20:21], v[50:51], v[14:15], v[12:13]
	v_sub_f32_e32 v24, v24, v25
	v_fmac_f32_e32 v31, v40, v54
	v_div_fixup_f32 v20, v36, v9, v22
	v_div_fixup_f32 v22, v37, v5, v58
	s_delay_alu instid0(VALU_DEP_4) | instskip(SKIP_3) | instid1(VALU_DEP_4)
	v_mul_f32_e32 v24, v8, v24
	v_pk_fma_f32 v[8:9], v[50:51], v[14:15], v[12:13] neg_lo:[0,0,1] neg_hi:[0,0,1]
	v_dual_mov_b32 v9, v21 :: v_dual_fma_f32 v10, -v43, v31, v10
	v_add_f32_e32 v12, v23, v19
	v_div_scale_f32 v14, null, v5, v5, v24
	s_delay_alu instid0(VALU_DEP_3) | instskip(SKIP_1) | instid1(VALU_DEP_3)
	v_pk_mul_f32 v[8:9], v[34:35], v[8:9]
	v_div_scale_f32 v28, s0, v24, v5, v24
	v_rcp_f32_e32 v15, v14
	v_add_f32_e32 v36, v4, v22
	s_delay_alu instid0(VALU_DEP_3) | instskip(SKIP_2) | instid1(VALU_DEP_3)
	v_div_scale_f32 v19, null, v5, v5, v8
	v_div_scale_f32 v37, s2, v9, v48, v9
	v_div_fmas_f32 v10, v10, v54, v31
	v_rcp_f32_e32 v23, v19
	s_delay_alu instid0(TRANS32_DEP_2) | instskip(SKIP_1) | instid1(VALU_DEP_2)
	v_fma_f32 v22, -v14, v15, 1.0
	s_mov_b32 vcc_lo, s0
	v_div_fixup_f32 v10, v10, v27, v26
	s_delay_alu instid0(VALU_DEP_2) | instskip(NEXT) | instid1(TRANS32_DEP_1)
	v_fmac_f32_e32 v15, v22, v15
	v_fma_f32 v29, -v19, v23, 1.0
	v_add_f32_e32 v12, v20, v12
	v_div_scale_f32 v20, null, v48, v48, v9
	ds_bpermute_b32 v13, v53, v36
	v_mul_f32_e32 v35, v28, v15
	v_fmac_f32_e32 v23, v29, v23
	v_rcp_f32_e32 v25, v20
	ds_bpermute_b32 v21, v52, v12
	v_div_scale_f32 v22, s1, v8, v5, v8
	v_fma_f32 v34, -v20, v25, 1.0
	s_wait_dscnt 0x1
	s_delay_alu instid0(VALU_DEP_1) | instskip(NEXT) | instid1(VALU_DEP_1)
	v_dual_fmac_f32 v25, v34, v25 :: v_dual_sub_f32 v13, v13, v36
	v_dual_fma_f32 v29, -v14, v35, v28 :: v_dual_mul_f32 v31, v37, v25
	s_wait_dscnt 0x0
	s_delay_alu instid0(VALU_DEP_2) | instskip(NEXT) | instid1(VALU_DEP_2)
	v_dual_add_f32 v12, v12, v21 :: v_dual_mul_f32 v39, v13, v11
	v_fmac_f32_e32 v35, v29, v15
	s_delay_alu instid0(VALU_DEP_3) | instskip(SKIP_1) | instid1(VALU_DEP_2)
	v_fma_f32 v27, -v20, v31, v37
	v_dual_mul_f32 v29, v22, v23 :: v_dual_mov_b32 v21, v5
	v_dual_add_f32 v10, v12, v10 :: v_dual_fmac_f32 v31, v27, v25
	s_delay_alu instid0(VALU_DEP_2) | instskip(NEXT) | instid1(VALU_DEP_1)
	v_dual_fma_f32 v26, -v19, v29, v22 :: v_dual_fma_f32 v14, -v14, v35, v28
	v_fmac_f32_e32 v29, v26, v23
	s_delay_alu instid0(VALU_DEP_2) | instskip(SKIP_3) | instid1(VALU_DEP_3)
	v_div_fmas_f32 v14, v14, v15, v35
	v_mov_b32_e32 v15, v18
	s_mov_b32 vcc_lo, s1
	v_div_scale_f32 v28, null, v33, v33, v39
	v_div_fixup_f32 v14, v14, v5, v24
	v_fma_f32 v18, -v19, v29, v22
	v_mov_b32_e32 v22, v11
	s_delay_alu instid0(VALU_DEP_4)
	v_rcp_f32_e32 v40, v28
	v_mov_b32_e32 v24, v11
	v_pk_add_f32 v[14:15], v[16:17], v[14:15]
	v_fma_f32 v17, -v20, v31, v37
	v_div_fmas_f32 v19, v18, v23, v29
	s_mov_b32 vcc_lo, s2
	v_sub_f32_e32 v37, v5, v11
	ds_bpermute_b32 v16, v53, v14
	v_div_fmas_f32 v17, v17, v25, v31
	v_fma_f32 v12, -v28, v40, 1.0
	v_div_fixup_f32 v19, v19, v5, v8
	v_div_scale_f32 v20, vcc_lo, v39, v33, v39
	s_delay_alu instid0(VALU_DEP_4) | instskip(NEXT) | instid1(VALU_DEP_4)
	v_div_fixup_f32 v9, v17, v48, v9
	v_fmac_f32_e32 v40, v12, v40
	v_div_fixup_f32 v17, v38, v5, v47
	v_dual_mov_b32 v8, v11 :: v_dual_mov_b32 v25, v30
	s_delay_alu instid0(VALU_DEP_3) | instskip(SKIP_1) | instid1(VALU_DEP_2)
	v_dual_add_f32 v9, v9, v10 :: v_dual_mul_f32 v41, v20, v40
	v_dual_mov_b32 v31, v33 :: v_dual_mov_b32 v18, v5
	v_dual_mov_b32 v23, v33 :: v_dual_add_f32 v38, v19, v9
	s_delay_alu instid0(VALU_DEP_3)
	v_dual_fma_f32 v10, -v28, v41, v20 :: v_dual_mov_b32 v9, v13
	v_mov_b32_e32 v19, v48
	s_wait_dscnt 0x0
	v_pk_add_f32 v[26:27], v[14:15], v[16:17]
	ds_bpermute_b32 v17, v53, v38
	v_dual_fmac_f32 v41, v10, v40 :: v_dual_mul_f32 v10, 0x40400000, v13
	v_mov_b32_e32 v12, v27
	ds_bpermute_b32 v29, v53, v27
	v_dual_fma_f32 v20, -v28, v41, v20 :: v_dual_mov_b32 v15, v27
	v_pk_mul_f32 v[34:35], v[12:13], v[8:9]
	s_delay_alu instid0(VALU_DEP_2) | instskip(NEXT) | instid1(VALU_DEP_3)
	v_div_fmas_f32 v40, v20, v40, v41
	v_pk_mul_f32 v[14:15], v[14:15], v[24:25]
	s_delay_alu instid0(VALU_DEP_3) | instskip(NEXT) | instid1(VALU_DEP_4)
	v_mul_f32_e32 v28, v13, v35
	v_pk_mul_f32 v[24:25], v[4:5], v[34:35]
	s_wait_dscnt 0x1
	v_dual_mov_b32 v34, v13 :: v_dual_add_f32 v38, v38, v17
	s_delay_alu instid0(VALU_DEP_3) | instskip(SKIP_1) | instid1(VALU_DEP_3)
	v_mul_f32_e32 v20, v5, v28
	v_mul_f32_e32 v28, v13, v28
	v_pk_mul_f32 v[2:3], v[34:35], v[2:3]
	s_wait_dscnt 0x0
	v_mov_b32_e32 v17, v29
	s_delay_alu instid0(VALU_DEP_3) | instskip(SKIP_1) | instid1(VALU_DEP_1)
	v_dual_mul_f32 v30, v5, v28 :: v_dual_mul_f32 v4, v20, v11
	v_mul_f32_e32 v20, v5, v29
	v_pk_fma_f32 v[8:9], v[12:13], v[8:9], v[20:21] neg_lo:[1,0,0] neg_hi:[1,0,0]
	v_mov_b32_e32 v9, v25
	v_pk_fma_f32 v[12:13], v[18:19], v[16:17], v[14:15] neg_lo:[0,0,1] neg_hi:[0,0,1]
	v_pk_fma_f32 v[14:15], v[18:19], v[16:17], v[14:15]
	v_mul_f32_e32 v24, v37, v4
	v_pk_mul_f32 v[4:5], v[30:31], v[22:23]
	v_pk_mul_f32 v[8:9], v[8:9], v[10:11]
	s_delay_alu instid0(VALU_DEP_4) | instskip(NEXT) | instid1(VALU_DEP_3)
	v_mov_b32_e32 v13, v15
	v_div_scale_f32 v14, null, v5, v5, v24
	s_delay_alu instid0(VALU_DEP_4) | instskip(NEXT) | instid1(VALU_DEP_3)
	v_pk_mul_f32 v[16:17], v[32:33], v[4:5]
	v_pk_mul_f32 v[10:11], v[2:3], v[12:13]
	v_div_scale_f32 v2, null, v33, v33, v9
	s_delay_alu instid0(VALU_DEP_4) | instskip(NEXT) | instid1(VALU_DEP_3)
	v_rcp_f32_e32 v4, v14
	v_div_scale_f32 v15, null, v17, v17, v16
	v_div_scale_f32 v12, null, v33, v33, v8
	;; [unrolled: 1-line block ×3, first 2 shown]
	s_delay_alu instid0(VALU_DEP_3)
	v_rcp_f32_e32 v20, v15
	v_div_scale_f32 v23, null, v5, v5, v11
	v_rcp_f32_e32 v30, v2
	v_rcp_f32_e32 v31, v12
	v_fma_f32 v25, -v14, v4, 1.0
	v_rcp_f32_e32 v32, v21
	v_rcp_f32_e32 v34, v23
	v_div_scale_f32 v18, vcc_lo, v24, v5, v24
	v_fma_f32 v28, -v2, v30, 1.0
	v_fmac_f32_e32 v4, v25, v4
	v_fma_f32 v25, -v15, v20, 1.0
	v_fma_f32 v37, -v12, v31, 1.0
	v_div_scale_f32 v19, s0, v16, v17, v16
	v_div_scale_f32 v3, s1, v9, v33, v9
	v_fma_f32 v42, -v23, v34, 1.0
	v_dual_fmac_f32 v30, v28, v30 :: v_dual_mul_f32 v41, v18, v4
	v_fmac_f32_e32 v31, v37, v31
	v_fmac_f32_e32 v20, v25, v20
	v_fma_f32 v25, -v21, v32, 1.0
	v_div_scale_f32 v13, s2, v8, v33, v8
	v_div_scale_f32 v22, s3, v10, v33, v10
	;; [unrolled: 1-line block ×3, first 2 shown]
	v_dual_fma_f32 v28, -v14, v41, v18 :: v_dual_mul_f32 v37, v19, v20
	v_dual_fmac_f32 v34, v42, v34 :: v_dual_fmac_f32 v32, v25, v32
	v_dual_mul_f32 v25, v3, v30 :: v_dual_mul_f32 v42, v13, v31
	s_delay_alu instid0(VALU_DEP_3) | instskip(NEXT) | instid1(VALU_DEP_3)
	v_dual_fmac_f32 v41, v28, v4 :: v_dual_fma_f32 v28, -v15, v37, v19
	v_dual_mul_f32 v43, v22, v32 :: v_dual_mul_f32 v45, v35, v34
	s_delay_alu instid0(VALU_DEP_3) | instskip(NEXT) | instid1(VALU_DEP_3)
	v_dual_fma_f32 v47, -v2, v25, v3 :: v_dual_fma_f32 v48, -v12, v42, v13
	v_dual_fma_f32 v14, -v14, v41, v18 :: v_dual_fmac_f32 v37, v28, v20
	s_delay_alu instid0(VALU_DEP_2) | instskip(NEXT) | instid1(VALU_DEP_3)
	v_dual_fma_f32 v18, -v21, v43, v22 :: v_dual_fmac_f32 v25, v47, v30
	v_dual_fma_f32 v28, -v23, v45, v35 :: v_dual_fmac_f32 v42, v48, v31
	s_delay_alu instid0(VALU_DEP_3) | instskip(NEXT) | instid1(VALU_DEP_3)
	v_div_fmas_f32 v4, v14, v4, v41
	v_fmac_f32_e32 v43, v18, v32
	s_delay_alu instid0(VALU_DEP_4) | instskip(SKIP_3) | instid1(VALU_DEP_3)
	v_fma_f32 v2, -v2, v25, v3
	s_mov_b32 vcc_lo, s1
	v_dual_fma_f32 v3, -v12, v42, v13 :: v_dual_fma_f32 v14, -v15, v37, v19
	v_fmac_f32_e32 v45, v28, v34
	v_div_fmas_f32 v2, v2, v30, v25
	s_mov_b32 vcc_lo, s2
	v_div_fixup_f32 v28, v4, v5, v24
	s_delay_alu instid0(VALU_DEP_3)
	v_dual_fma_f32 v4, -v21, v43, v22 :: v_dual_fma_f32 v12, -v23, v45, v35
	v_div_fmas_f32 v15, v3, v31, v42
	s_mov_b32 vcc_lo, s0
	v_div_fixup_f32 v9, v2, v33, v9
	v_div_fmas_f32 v3, v14, v20, v37
	s_mov_b32 vcc_lo, s3
	v_div_fixup_f32 v14, v40, v33, v39
	;; [unrolled: 3-line block ×3, first 2 shown]
	v_div_fmas_f32 v12, v12, v34, v45
	v_cmp_gt_f32_e32 vcc_lo, v44, v55
	v_div_fixup_f32 v8, v15, v33, v8
	v_div_fixup_f32 v2, v4, v33, v10
	s_delay_alu instid0(VALU_DEP_4) | instskip(SKIP_3) | instid1(VALU_DEP_3)
	v_div_fixup_f32 v5, v12, v5, v11
	v_dual_cndmask_b32 v3, v44, v55, vcc_lo :: v_dual_add_f32 v11, v38, v13
	v_pk_add_f32 v[12:13], v[26:27], v[28:29]
	v_cmp_lt_f32_e32 vcc_lo, v46, v49
	v_dual_add_f32 v10, v5, v11 :: v_dual_add_f32 v5, v36, v14
	v_cndmask_b32_e32 v4, v46, v49, vcc_lo
	s_delay_alu instid0(VALU_DEP_4) | instskip(NEXT) | instid1(VALU_DEP_3)
	v_pk_add_f32 v[14:15], v[12:13], v[8:9]
	v_dual_add_f32 v12, v2, v10 :: v_dual_mov_b32 v2, v33
.LBB0_5:
	s_or_b32 exec_lo, exec_lo, s5
	s_branch .LBB0_32
.LBB0_6:
                                        ; implicit-def: $vgpr3
                                        ; implicit-def: $vgpr14_vgpr15
                                        ; implicit-def: $vgpr12
	s_cbranch_execz .LBB0_32
; %bb.7:
	s_sub_co_i32 s6, s8, s26
	s_mov_b32 s0, exec_lo
                                        ; implicit-def: $vgpr12
                                        ; implicit-def: $vgpr4_vgpr5
                                        ; implicit-def: $vgpr15
	v_cmpx_gt_u32_e64 s6, v0
	s_cbranch_execz .LBB0_9
; %bb.8:
	s_clause 0x1
	global_load_b96 v[8:10], v[6:7], off offset:16
	global_load_b128 v[2:5], v[6:7], off
	s_wait_loadcnt 0x1
	v_dual_mov_b32 v12, v10 :: v_dual_mov_b32 v15, v8
	v_mov_b32_e32 v14, v9
.LBB0_9:
	s_wait_xcnt 0x0
	s_or_b32 exec_lo, exec_lo, s0
	v_or_b32_e32 v8, 0x100, v0
	s_delay_alu instid0(VALU_DEP_1)
	v_cmp_gt_u32_e32 vcc_lo, s6, v8
	s_wait_loadcnt 0x0
	v_mov_b64_e32 v[8:9], v[2:3]
	s_and_saveexec_b32 s7, vcc_lo
	s_cbranch_execz .LBB0_11
; %bb.10:
	s_clause 0x1
	global_load_b128 v[16:19], v[6:7], off offset:7168
	global_load_b96 v[20:22], v[6:7], off offset:7184
	s_wait_xcnt 0x0
	v_dual_mov_b32 v6, v2 :: v_dual_mov_b32 v11, v2
	v_dual_mov_b32 v24, v2 :: v_dual_mov_b32 v25, v15
	v_mov_b64_e32 v[26:27], 0x40c0000040800000
	s_wait_loadcnt 0x1
	v_dual_mov_b32 v28, v2 :: v_dual_mul_f32 v10, v16, v16
	v_cmp_lt_f32_e32 vcc_lo, v17, v3
	v_dual_mov_b32 v7, v16 :: v_dual_sub_f32 v30, v19, v5
	s_wait_loadcnt 0x0
	v_dual_add_f32 v19, v12, v22 :: v_dual_mov_b32 v8, v21
	v_dual_cndmask_b32 v9, v3, v17, vcc_lo :: v_dual_mov_b32 v13, v16
	v_dual_sub_f32 v17, v2, v16 :: v_dual_mov_b32 v22, v20
	v_dual_mov_b32 v23, v16 :: v_dual_mov_b32 v33, v20
	v_dual_mul_f32 v32, v15, v16 :: v_dual_mul_f32 v31, v30, v30
	v_pk_mul_f32 v[34:35], v[2:3], v[6:7] op_sel_hi:[0,1]
	v_pk_add_f32 v[36:37], v[14:15], v[8:9]
	v_mul_f32_e32 v38, v16, v30
	s_delay_alu instid0(VALU_DEP_4) | instskip(NEXT) | instid1(VALU_DEP_4)
	v_pk_fma_f32 v[22:23], v[24:25], v[22:23], v[32:33] op_sel_hi:[1,1,0] neg_lo:[0,0,1] neg_hi:[0,0,1]
	v_dual_mul_f32 v23, v30, v31 :: v_dual_mov_b32 v8, v35
	v_dual_mul_f32 v29, v2, v31 :: v_dual_mul_f32 v12, 0x40400000, v30
	v_mov_b32_e32 v37, v15
	v_pk_mul_f32 v[24:25], v[30:31], v[26:27]
	s_delay_alu instid0(VALU_DEP_4) | instskip(SKIP_2) | instid1(VALU_DEP_2)
	v_pk_fma_f32 v[6:7], v[2:3], v[6:7], v[8:9] op_sel_hi:[0,1,1] neg_lo:[0,0,1] neg_hi:[0,0,1]
	v_dual_mul_f32 v26, v2, v23 :: v_dual_mov_b32 v7, v16
	v_dual_mul_f32 v8, v30, v23 :: v_dual_mov_b32 v23, v29
	v_dual_mov_b32 v29, v34 :: v_dual_mul_f32 v27, v16, v26
	s_delay_alu instid0(VALU_DEP_3) | instskip(NEXT) | instid1(VALU_DEP_3)
	v_pk_add_f32 v[6:7], v[10:11], v[6:7]
	v_mul_f32_e32 v26, v2, v8
	s_delay_alu instid0(VALU_DEP_4) | instskip(NEXT) | instid1(VALU_DEP_3)
	v_pk_mul_f32 v[12:13], v[12:13], v[22:23]
	v_dual_mul_f32 v8, v17, v27 :: v_dual_mov_b32 v17, v7
	v_mov_b32_e32 v27, v7
	s_delay_alu instid0(VALU_DEP_3) | instskip(SKIP_1) | instid1(VALU_DEP_3)
	v_div_scale_f32 v32, null, v7, v7, v13
	v_div_scale_f32 v30, null, v7, v7, v38
	v_pk_mul_f32 v[22:23], v[16:17], v[26:27]
	s_delay_alu instid0(VALU_DEP_3) | instskip(SKIP_4) | instid1(VALU_DEP_3)
	v_rcp_f32_e32 v26, v32
	v_mov_b32_e32 v17, v10
	v_div_scale_f32 v35, null, v7, v7, v12
	v_rcp_f32_e32 v40, v30
	v_div_scale_f32 v41, null, v23, v23, v8
	v_pk_mul_f32 v[14:15], v[14:15], v[16:17]
	v_pk_mul_f32 v[10:11], v[6:7], v[22:23]
	v_rcp_f32_e32 v27, v35
	v_fma_f32 v16, -v32, v26, 1.0
	v_rcp_f32_e32 v22, v41
	v_pk_fma_f32 v[2:3], v[2:3], v[20:21], v[14:15] op_sel:[0,1,0] op_sel_hi:[1,0,1] neg_lo:[0,0,1] neg_hi:[0,0,1]
	v_pk_fma_f32 v[14:15], v[28:29], v[20:21], v[14:15] op_sel:[0,1,0] op_sel_hi:[1,0,1]
	v_fma_f32 v6, -v30, v40, 1.0
	v_div_scale_f32 v43, null, v11, v11, v10
	v_div_scale_f32 v34, s0, v13, v7, v13
	s_delay_alu instid0(VALU_DEP_4)
	v_dual_fmac_f32 v26, v16, v26 :: v_dual_mov_b32 v3, v15
	v_div_scale_f32 v31, vcc_lo, v38, v7, v38
	v_fma_f32 v17, -v35, v27, 1.0
	v_fmac_f32_e32 v40, v6, v40
	v_fma_f32 v15, -v41, v22, 1.0
	v_rcp_f32_e32 v6, v43
	v_mul_f32_e32 v16, v34, v26
	v_pk_mul_f32 v[2:3], v[24:25], v[2:3]
	v_div_scale_f32 v39, s1, v12, v7, v12
	v_div_scale_f32 v42, s2, v8, v23, v8
	v_dual_fmac_f32 v27, v17, v27 :: v_dual_fmac_f32 v22, v15, v22
	v_mul_f32_e32 v14, v31, v40
	v_fma_f32 v15, -v43, v6, 1.0
	v_div_scale_f32 v25, null, v23, v23, v3
	s_delay_alu instid0(VALU_DEP_3) | instskip(SKIP_1) | instid1(VALU_DEP_4)
	v_dual_mul_f32 v17, v39, v27 :: v_dual_fma_f32 v20, -v30, v14, v31
	v_fma_f32 v21, -v32, v16, v34
	v_fmac_f32_e32 v6, v15, v6
	s_delay_alu instid0(VALU_DEP_4) | instskip(NEXT) | instid1(VALU_DEP_3)
	v_rcp_f32_e32 v15, v25
	v_dual_fma_f32 v24, -v35, v17, v39 :: v_dual_fmac_f32 v14, v20, v40
	s_delay_alu instid0(VALU_DEP_3) | instskip(SKIP_2) | instid1(VALU_DEP_4)
	v_fmac_f32_e32 v16, v21, v26
	v_div_scale_f32 v29, null, v7, v7, v2
	v_div_scale_f32 v44, s3, v10, v11, v10
	v_dual_fmac_f32 v17, v24, v27 :: v_dual_mul_f32 v20, v42, v22
	s_delay_alu instid0(VALU_DEP_4) | instskip(SKIP_4) | instid1(VALU_DEP_3)
	v_dual_fma_f32 v24, -v30, v14, v31 :: v_dual_fma_f32 v30, -v32, v16, v34
	v_fma_f32 v32, -v25, v15, 1.0
	v_rcp_f32_e32 v21, v29
	v_div_scale_f32 v28, s4, v3, v23, v3
	v_div_scale_f32 v45, s5, v2, v7, v2
	v_dual_fmac_f32 v15, v32, v15 :: v_dual_fma_f32 v46, -v41, v20, v42
	v_mul_f32_e32 v47, v44, v6
	s_delay_alu instid0(TRANS32_DEP_1) | instskip(SKIP_3) | instid1(VALU_DEP_3)
	v_fma_f32 v34, -v29, v21, 1.0
	v_div_fmas_f32 v14, v24, v40, v14
	s_mov_b32 vcc_lo, s2
	v_fmac_f32_e32 v20, v46, v22
	v_dual_fma_f32 v31, -v43, v47, v44 :: v_dual_fmac_f32 v21, v34, v21
	s_delay_alu instid0(VALU_DEP_1) | instskip(NEXT) | instid1(VALU_DEP_2)
	v_dual_fma_f32 v24, -v41, v20, v42 :: v_dual_fmac_f32 v47, v31, v6
	v_dual_mul_f32 v34, v45, v21 :: v_dual_mul_f32 v31, v28, v15
	s_delay_alu instid0(VALU_DEP_2) | instskip(NEXT) | instid1(VALU_DEP_3)
	v_div_fmas_f32 v20, v24, v22, v20
	v_fma_f32 v24, -v43, v47, v44
	s_mov_b32 vcc_lo, s3
	v_fma_f32 v22, -v35, v17, v39
	s_delay_alu instid0(VALU_DEP_3)
	v_div_fixup_f32 v32, v20, v23, v8
	v_fma_f32 v20, -v29, v34, v45
	v_fma_f32 v8, -v25, v31, v28
	v_div_fmas_f32 v6, v24, v6, v47
	s_mov_b32 vcc_lo, s0
	v_div_fmas_f32 v16, v30, v26, v16
	v_fmac_f32_e32 v34, v20, v21
	v_fmac_f32_e32 v31, v8, v15
	v_div_fixup_f32 v6, v6, v11, v10
	s_mov_b32 vcc_lo, s1
	v_div_fixup_f32 v13, v16, v7, v13
	v_fma_f32 v16, -v29, v34, v45
	s_delay_alu instid0(VALU_DEP_3) | instskip(SKIP_3) | instid1(VALU_DEP_3)
	v_dual_fma_f32 v8, -v25, v31, v28 :: v_dual_add_f32 v6, v19, v6
	v_div_fmas_f32 v17, v22, v27, v17
	s_mov_b32 vcc_lo, s4
	v_pk_add_f32 v[10:11], v[36:37], v[32:33]
	v_div_fmas_f32 v8, v8, v15, v31
	s_mov_b32 vcc_lo, s5
	v_div_fixup_f32 v12, v17, v7, v12
	v_div_fmas_f32 v16, v16, v21, v34
	v_cmp_lt_f32_e32 vcc_lo, v4, v18
	v_div_fixup_f32 v3, v8, v23, v3
	v_div_fixup_f32 v17, v14, v7, v38
	v_pk_add_f32 v[14:15], v[10:11], v[12:13]
	v_div_fixup_f32 v10, v16, v7, v2
	v_dual_cndmask_b32 v4, v4, v18, vcc_lo :: v_dual_mov_b32 v8, v7
	s_delay_alu instid0(VALU_DEP_4) | instskip(NEXT) | instid1(VALU_DEP_1)
	v_dual_add_f32 v3, v3, v6 :: v_dual_add_f32 v5, v5, v17
	v_dual_mov_b32 v2, v7 :: v_dual_add_f32 v12, v10, v3
	v_mov_b32_e32 v3, v9
.LBB0_11:
	s_or_b32 exec_lo, exec_lo, s7
	v_cmp_ne_u32_e32 vcc_lo, 31, v1
	v_and_b32_e32 v10, 0xe0, v0
	s_min_u32 s4, s6, 0x100
	v_dual_mov_b32 v17, v9 :: v_dual_mov_b32 v11, v15
	v_add_co_ci_u32_e64 v6, null, 0, v1, vcc_lo
	s_delay_alu instid0(VALU_DEP_3) | instskip(NEXT) | instid1(VALU_DEP_2)
	v_sub_nc_u32_e64 v13, s4, v10 clamp
	v_dual_mov_b32 v10, v14 :: v_dual_lshlrev_b32 v7, 2, v6
	ds_bpermute_b32 v21, v7, v2
	ds_bpermute_b32 v16, v7, v9
	;; [unrolled: 1-line block ×7, first 2 shown]
	v_add_nc_u32_e32 v7, 1, v1
	s_delay_alu instid0(VALU_DEP_1) | instskip(SKIP_2) | instid1(SALU_CYCLE_1)
	v_cmp_lt_u32_e32 vcc_lo, v7, v13
	v_mov_b32_e32 v7, v2
	s_and_saveexec_b32 s0, vcc_lo
	s_xor_b32 s5, exec_lo, s0
	s_cbranch_execz .LBB0_13
; %bb.12:
	v_dual_mov_b32 v10, v8 :: v_dual_mov_b32 v11, v15
	s_wait_dscnt 0x2
	v_mov_b32_e32 v20, v19
	v_dual_mul_f32 v24, v15, v21 :: v_dual_mov_b32 v33, v8
	v_mov_b32_e32 v34, v21
	v_mov_b32_e32 v30, 0x40400000
	s_wait_dscnt 0x1
	v_pk_add_f32 v[26:27], v[14:15], v[18:19]
	v_pk_fma_f32 v[10:11], v[10:11], v[20:21], v[24:25] op_sel_hi:[1,1,0] neg_lo:[0,0,1] neg_hi:[0,0,1]
	v_dual_mov_b32 v20, v8 :: v_dual_sub_f32 v24, v6, v5
	v_dual_mul_f32 v32, v21, v21 :: v_dual_sub_f32 v11, v2, v21
	v_mov_b32_e32 v38, v21
	s_delay_alu instid0(VALU_DEP_3) | instskip(SKIP_2) | instid1(VALU_DEP_3)
	v_pk_mul_f32 v[28:29], v[8:9], v[20:21] op_sel_hi:[0,1]
	v_mov_b32_e32 v31, v8
	v_dual_mul_f32 v25, v24, v24 :: v_dual_mov_b32 v27, v15
	v_dual_mov_b32 v39, v32 :: v_dual_mov_b32 v6, v29
	v_mov_b64_e32 v[36:37], 0x40c0000040800000
	s_delay_alu instid0(VALU_DEP_3)
	v_mul_f32_e32 v3, v24, v25
	v_pk_mul_f32 v[30:31], v[30:31], v[24:25]
	s_wait_dscnt 0x0
	v_add_f32_e32 v12, v12, v23
	v_pk_fma_f32 v[6:7], v[8:9], v[20:21], v[6:7] op_sel_hi:[0,1,1] neg_lo:[0,0,1] neg_hi:[0,0,1]
	v_dual_mov_b32 v7, v21 :: v_dual_mul_f32 v17, v2, v3
	v_mul_f32_e32 v3, v24, v3
	s_delay_alu instid0(VALU_DEP_2) | instskip(NEXT) | instid1(VALU_DEP_3)
	v_pk_add_f32 v[6:7], v[32:33], v[6:7]
	v_dual_mul_f32 v33, v24, v21 :: v_dual_mul_f32 v17, v17, v21
	s_delay_alu instid0(VALU_DEP_3) | instskip(SKIP_1) | instid1(VALU_DEP_4)
	v_mul_f32_e32 v2, v2, v3
	v_pk_mul_f32 v[14:15], v[14:15], v[38:39]
	v_dual_mov_b32 v3, v7 :: v_dual_mov_b32 v35, v7
	s_delay_alu instid0(VALU_DEP_4) | instskip(SKIP_1) | instid1(VALU_DEP_3)
	v_div_scale_f32 v40, null, v7, v7, v33
	v_dual_mul_f32 v17, v11, v17 :: v_dual_mov_b32 v11, v21
	v_pk_mul_f32 v[2:3], v[2:3], v[34:35]
	s_delay_alu instid0(VALU_DEP_3)
	v_rcp_f32_e32 v32, v40
	v_mov_b32_e32 v21, v28
	v_pk_mul_f32 v[24:25], v[24:25], v[36:37]
	v_pk_mul_f32 v[10:11], v[30:31], v[10:11]
	v_div_scale_f32 v34, null, v3, v3, v17
	v_div_scale_f32 v31, s0, v17, v3, v17
	s_delay_alu instid0(TRANS32_DEP_1) | instskip(NEXT) | instid1(VALU_DEP_3)
	v_fma_f32 v28, -v40, v32, 1.0
	v_rcp_f32_e32 v35, v34
	v_div_scale_f32 v30, null, v7, v7, v11
	v_div_scale_f32 v38, null, v7, v7, v10
	s_delay_alu instid0(VALU_DEP_3) | instskip(SKIP_1) | instid1(TRANS32_DEP_1)
	v_fmac_f32_e32 v32, v28, v32
	v_pk_fma_f32 v[20:21], v[20:21], v[18:19], v[14:15]
	v_fma_f32 v28, -v34, v35, 1.0
	v_div_scale_f32 v20, vcc_lo, v33, v7, v33
	v_rcp_f32_e32 v37, v30
	v_pk_fma_f32 v[14:15], v[8:9], v[18:19], v[14:15] neg_lo:[0,0,1] neg_hi:[0,0,1]
	s_delay_alu instid0(VALU_DEP_3) | instskip(NEXT) | instid1(VALU_DEP_3)
	v_fmac_f32_e32 v35, v28, v35
	v_dual_mul_f32 v36, v20, v32 :: v_dual_mov_b32 v15, v21
	v_rcp_f32_e32 v44, v38
	v_div_scale_f32 v41, s1, v11, v7, v11
	s_delay_alu instid0(VALU_DEP_2) | instskip(SKIP_2) | instid1(TRANS32_DEP_1)
	v_dual_mul_f32 v39, v31, v35 :: v_dual_fma_f32 v28, -v40, v36, v20
	v_fma_f32 v42, -v30, v37, 1.0
	v_pk_mul_f32 v[14:15], v[24:25], v[14:15]
	v_fma_f32 v18, -v38, v44, 1.0
	s_delay_alu instid0(VALU_DEP_4) | instskip(SKIP_3) | instid1(VALU_DEP_4)
	v_dual_fma_f32 v43, -v34, v39, v31 :: v_dual_fmac_f32 v36, v28, v32
	v_pk_mul_f32 v[28:29], v[6:7], v[2:3]
	v_fmac_f32_e32 v37, v42, v37
	v_div_scale_f32 v24, null, v3, v3, v15
	v_dual_fmac_f32 v39, v43, v35 :: v_dual_fma_f32 v2, -v40, v36, v20
	s_delay_alu instid0(VALU_DEP_4) | instskip(NEXT) | instid1(VALU_DEP_2)
	v_div_scale_f32 v8, null, v29, v29, v28
	v_dual_mul_f32 v21, v41, v37 :: v_dual_fma_f32 v6, -v34, v39, v31
	s_delay_alu instid0(VALU_DEP_3)
	v_div_fmas_f32 v2, v2, v32, v36
	v_rcp_f32_e32 v32, v24
	s_mov_b32 vcc_lo, s0
	v_rcp_f32_e32 v20, v8
	v_div_fmas_f32 v6, v6, v35, v39
	v_div_scale_f32 v35, null, v7, v7, v14
	v_div_scale_f32 v25, s0, v10, v7, v10
	s_delay_alu instid0(TRANS32_DEP_2) | instskip(NEXT) | instid1(TRANS32_DEP_1)
	v_fma_f32 v34, -v24, v32, 1.0
	v_fma_f32 v31, -v8, v20, 1.0
	v_div_scale_f32 v39, s3, v15, v3, v15
	s_mov_b32 vcc_lo, s1
	v_fmac_f32_e32 v32, v34, v32
	v_rcp_f32_e32 v34, v35
	v_fmac_f32_e32 v44, v18, v44
	v_div_fixup_f32 v18, v6, v3, v17
	v_dual_fma_f32 v6, -v30, v21, v41 :: v_dual_fmac_f32 v20, v31, v20
	v_div_scale_f32 v31, s2, v28, v29, v28
	s_delay_alu instid0(VALU_DEP_3) | instskip(NEXT) | instid1(VALU_DEP_3)
	v_pk_add_f32 v[18:19], v[26:27], v[18:19]
	v_fmac_f32_e32 v21, v6, v37
	v_div_fixup_f32 v2, v2, v7, v33
	s_delay_alu instid0(VALU_DEP_2) | instskip(SKIP_1) | instid1(VALU_DEP_1)
	v_dual_mul_f32 v36, v31, v20 :: v_dual_fma_f32 v30, -v30, v21, v41
	v_fma_f32 v41, -v35, v34, 1.0
	v_fmac_f32_e32 v34, v41, v34
	v_mul_f32_e32 v17, v25, v44
	s_delay_alu instid0(VALU_DEP_1) | instskip(NEXT) | instid1(VALU_DEP_1)
	v_fma_f32 v6, -v38, v17, v25
	v_fmac_f32_e32 v17, v6, v44
	v_fma_f32 v6, -v8, v36, v31
	v_mul_f32_e32 v40, v39, v32
	v_div_fmas_f32 v21, v30, v37, v21
	v_div_scale_f32 v30, s1, v14, v7, v14
	v_fma_f32 v25, -v38, v17, v25
	s_mov_b32 vcc_lo, s0
	s_delay_alu instid0(VALU_DEP_3) | instskip(NEXT) | instid1(VALU_DEP_2)
	v_div_fixup_f32 v11, v21, v7, v11
	v_div_fmas_f32 v17, v25, v44, v17
	v_mul_f32_e32 v25, v30, v34
	v_fmac_f32_e32 v36, v6, v20
	v_fma_f32 v6, -v24, v40, v39
	s_mov_b32 vcc_lo, s2
	v_div_fixup_f32 v10, v17, v7, v10
	s_delay_alu instid0(VALU_DEP_3) | instskip(NEXT) | instid1(VALU_DEP_3)
	v_fma_f32 v8, -v8, v36, v31
	v_fmac_f32_e32 v40, v6, v32
	s_delay_alu instid0(VALU_DEP_3) | instskip(NEXT) | instid1(VALU_DEP_3)
	v_pk_add_f32 v[10:11], v[18:19], v[10:11]
	v_div_fmas_f32 v6, v8, v20, v36
	v_fma_f32 v8, -v35, v25, v30
	s_mov_b32 vcc_lo, s3
	s_delay_alu instid0(VALU_DEP_2) | instskip(NEXT) | instid1(VALU_DEP_2)
	v_div_fixup_f32 v6, v6, v29, v28
	v_fmac_f32_e32 v25, v8, v34
	s_delay_alu instid0(VALU_DEP_2) | instskip(NEXT) | instid1(VALU_DEP_2)
	v_add_f32_e32 v6, v12, v6
	v_dual_fma_f32 v20, -v24, v40, v39 :: v_dual_fma_f32 v17, -v35, v25, v30
	s_delay_alu instid0(VALU_DEP_1) | instskip(SKIP_1) | instid1(VALU_DEP_1)
	v_div_fmas_f32 v8, v20, v32, v40
	s_mov_b32 vcc_lo, s1
	v_div_fixup_f32 v3, v8, v3, v15
	s_delay_alu instid0(VALU_DEP_3) | instskip(SKIP_1) | instid1(VALU_DEP_3)
	v_div_fmas_f32 v8, v17, v34, v25
	v_cmp_lt_f32_e32 vcc_lo, v16, v9
	v_add_f32_e32 v3, v3, v6
	s_delay_alu instid0(VALU_DEP_3) | instskip(SKIP_3) | instid1(VALU_DEP_4)
	v_div_fixup_f32 v8, v8, v7, v14
	v_cndmask_b32_e32 v17, v9, v16, vcc_lo
	v_cmp_lt_f32_e32 vcc_lo, v4, v22
	v_dual_mov_b32 v16, v7 :: v_dual_add_f32 v5, v5, v2
	v_add_f32_e32 v12, v8, v3
	v_mov_b64_e32 v[14:15], v[10:11]
	v_cndmask_b32_e32 v4, v4, v22, vcc_lo
	s_delay_alu instid0(VALU_DEP_4)
	v_mov_b64_e32 v[8:9], v[16:17]
	v_dual_mov_b32 v2, v7 :: v_dual_mov_b32 v3, v17
.LBB0_13:
	s_or_b32 exec_lo, exec_lo, s5
	v_cmp_gt_u32_e32 vcc_lo, 30, v1
	s_mov_b32 s5, exec_lo
	s_wait_dscnt 0x3
	v_cndmask_b32_e64 v6, 0, 2, vcc_lo
	s_delay_alu instid0(VALU_DEP_1)
	v_add_lshl_u32 v20, v6, v1, 2
	ds_bpermute_b32 v21, v20, v7
	ds_bpermute_b32 v16, v20, v17
	;; [unrolled: 1-line block ×4, first 2 shown]
	s_wait_dscnt 0x6
	ds_bpermute_b32 v19, v20, v11
	s_wait_dscnt 0x6
	ds_bpermute_b32 v18, v20, v10
	;; [unrolled: 2-line block ×3, first 2 shown]
	v_add_nc_u32_e32 v20, 2, v1
	s_delay_alu instid0(VALU_DEP_1)
	v_cmpx_lt_u32_e64 v20, v13
	s_cbranch_execz .LBB0_15
; %bb.14:
	v_dual_mov_b32 v10, v8 :: v_dual_mov_b32 v11, v15
	s_wait_dscnt 0x2
	v_mov_b32_e32 v20, v19
	v_dual_mul_f32 v24, v15, v21 :: v_dual_mov_b32 v33, v8
	v_mov_b32_e32 v34, v21
	v_mov_b32_e32 v30, 0x40400000
	s_wait_dscnt 0x1
	v_pk_add_f32 v[26:27], v[14:15], v[18:19]
	v_pk_fma_f32 v[10:11], v[10:11], v[20:21], v[24:25] op_sel_hi:[1,1,0] neg_lo:[0,0,1] neg_hi:[0,0,1]
	v_dual_mov_b32 v20, v8 :: v_dual_sub_f32 v24, v6, v5
	v_dual_mul_f32 v32, v21, v21 :: v_dual_sub_f32 v11, v2, v21
	v_mov_b32_e32 v38, v21
	s_delay_alu instid0(VALU_DEP_3) | instskip(SKIP_2) | instid1(VALU_DEP_3)
	v_pk_mul_f32 v[28:29], v[8:9], v[20:21] op_sel_hi:[0,1]
	v_mov_b32_e32 v31, v8
	v_dual_mul_f32 v25, v24, v24 :: v_dual_mov_b32 v27, v15
	v_dual_mov_b32 v39, v32 :: v_dual_mov_b32 v6, v29
	v_mov_b64_e32 v[36:37], 0x40c0000040800000
	s_delay_alu instid0(VALU_DEP_3)
	v_mul_f32_e32 v3, v24, v25
	v_pk_mul_f32 v[30:31], v[30:31], v[24:25]
	s_wait_dscnt 0x0
	v_add_f32_e32 v12, v12, v23
	v_pk_fma_f32 v[6:7], v[8:9], v[20:21], v[6:7] op_sel_hi:[0,1,1] neg_lo:[0,0,1] neg_hi:[0,0,1]
	v_dual_mov_b32 v7, v21 :: v_dual_mul_f32 v17, v2, v3
	v_mul_f32_e32 v3, v24, v3
	s_delay_alu instid0(VALU_DEP_2) | instskip(NEXT) | instid1(VALU_DEP_3)
	v_pk_add_f32 v[6:7], v[32:33], v[6:7]
	v_dual_mul_f32 v33, v24, v21 :: v_dual_mul_f32 v17, v17, v21
	s_delay_alu instid0(VALU_DEP_3) | instskip(SKIP_1) | instid1(VALU_DEP_4)
	v_mul_f32_e32 v2, v2, v3
	v_pk_mul_f32 v[14:15], v[14:15], v[38:39]
	v_dual_mov_b32 v3, v7 :: v_dual_mov_b32 v35, v7
	s_delay_alu instid0(VALU_DEP_4) | instskip(SKIP_1) | instid1(VALU_DEP_3)
	v_div_scale_f32 v40, null, v7, v7, v33
	v_dual_mul_f32 v17, v11, v17 :: v_dual_mov_b32 v11, v21
	v_pk_mul_f32 v[2:3], v[2:3], v[34:35]
	s_delay_alu instid0(VALU_DEP_3)
	v_rcp_f32_e32 v32, v40
	v_mov_b32_e32 v21, v28
	v_pk_mul_f32 v[24:25], v[24:25], v[36:37]
	v_pk_mul_f32 v[10:11], v[30:31], v[10:11]
	v_div_scale_f32 v34, null, v3, v3, v17
	v_div_scale_f32 v31, s0, v17, v3, v17
	s_delay_alu instid0(TRANS32_DEP_1) | instskip(NEXT) | instid1(VALU_DEP_3)
	v_fma_f32 v28, -v40, v32, 1.0
	v_rcp_f32_e32 v35, v34
	v_div_scale_f32 v30, null, v7, v7, v11
	v_div_scale_f32 v38, null, v7, v7, v10
	s_delay_alu instid0(VALU_DEP_3) | instskip(SKIP_1) | instid1(TRANS32_DEP_1)
	v_fmac_f32_e32 v32, v28, v32
	v_pk_fma_f32 v[20:21], v[20:21], v[18:19], v[14:15]
	v_fma_f32 v28, -v34, v35, 1.0
	v_div_scale_f32 v20, vcc_lo, v33, v7, v33
	v_rcp_f32_e32 v37, v30
	v_pk_fma_f32 v[14:15], v[8:9], v[18:19], v[14:15] neg_lo:[0,0,1] neg_hi:[0,0,1]
	s_delay_alu instid0(VALU_DEP_3) | instskip(NEXT) | instid1(VALU_DEP_3)
	v_fmac_f32_e32 v35, v28, v35
	v_dual_mul_f32 v36, v20, v32 :: v_dual_mov_b32 v15, v21
	v_rcp_f32_e32 v44, v38
	v_div_scale_f32 v41, s1, v11, v7, v11
	s_delay_alu instid0(VALU_DEP_2) | instskip(SKIP_2) | instid1(TRANS32_DEP_1)
	v_dual_mul_f32 v39, v31, v35 :: v_dual_fma_f32 v28, -v40, v36, v20
	v_fma_f32 v42, -v30, v37, 1.0
	v_pk_mul_f32 v[14:15], v[24:25], v[14:15]
	v_fma_f32 v18, -v38, v44, 1.0
	s_delay_alu instid0(VALU_DEP_4) | instskip(SKIP_3) | instid1(VALU_DEP_4)
	v_dual_fma_f32 v43, -v34, v39, v31 :: v_dual_fmac_f32 v36, v28, v32
	v_pk_mul_f32 v[28:29], v[6:7], v[2:3]
	v_fmac_f32_e32 v37, v42, v37
	v_div_scale_f32 v24, null, v3, v3, v15
	v_dual_fmac_f32 v39, v43, v35 :: v_dual_fma_f32 v2, -v40, v36, v20
	s_delay_alu instid0(VALU_DEP_4) | instskip(NEXT) | instid1(VALU_DEP_2)
	v_div_scale_f32 v8, null, v29, v29, v28
	v_dual_mul_f32 v21, v41, v37 :: v_dual_fma_f32 v6, -v34, v39, v31
	s_delay_alu instid0(VALU_DEP_3)
	v_div_fmas_f32 v2, v2, v32, v36
	v_rcp_f32_e32 v32, v24
	s_mov_b32 vcc_lo, s0
	v_rcp_f32_e32 v20, v8
	v_div_fmas_f32 v6, v6, v35, v39
	v_div_scale_f32 v35, null, v7, v7, v14
	v_div_scale_f32 v25, s0, v10, v7, v10
	s_delay_alu instid0(TRANS32_DEP_2) | instskip(NEXT) | instid1(TRANS32_DEP_1)
	v_fma_f32 v34, -v24, v32, 1.0
	v_fma_f32 v31, -v8, v20, 1.0
	v_div_scale_f32 v39, s3, v15, v3, v15
	s_mov_b32 vcc_lo, s1
	v_fmac_f32_e32 v32, v34, v32
	v_rcp_f32_e32 v34, v35
	v_fmac_f32_e32 v44, v18, v44
	v_div_fixup_f32 v18, v6, v3, v17
	v_dual_fma_f32 v6, -v30, v21, v41 :: v_dual_fmac_f32 v20, v31, v20
	v_div_scale_f32 v31, s2, v28, v29, v28
	s_delay_alu instid0(VALU_DEP_3) | instskip(NEXT) | instid1(VALU_DEP_3)
	v_pk_add_f32 v[18:19], v[26:27], v[18:19]
	v_fmac_f32_e32 v21, v6, v37
	v_div_fixup_f32 v2, v2, v7, v33
	s_delay_alu instid0(VALU_DEP_2) | instskip(SKIP_1) | instid1(VALU_DEP_1)
	v_dual_mul_f32 v36, v31, v20 :: v_dual_fma_f32 v30, -v30, v21, v41
	v_fma_f32 v41, -v35, v34, 1.0
	v_fmac_f32_e32 v34, v41, v34
	v_mul_f32_e32 v17, v25, v44
	s_delay_alu instid0(VALU_DEP_1) | instskip(NEXT) | instid1(VALU_DEP_1)
	v_fma_f32 v6, -v38, v17, v25
	v_fmac_f32_e32 v17, v6, v44
	v_fma_f32 v6, -v8, v36, v31
	v_mul_f32_e32 v40, v39, v32
	v_div_fmas_f32 v21, v30, v37, v21
	v_div_scale_f32 v30, s1, v14, v7, v14
	v_fma_f32 v25, -v38, v17, v25
	s_mov_b32 vcc_lo, s0
	s_delay_alu instid0(VALU_DEP_3) | instskip(NEXT) | instid1(VALU_DEP_2)
	v_div_fixup_f32 v11, v21, v7, v11
	v_div_fmas_f32 v17, v25, v44, v17
	v_mul_f32_e32 v25, v30, v34
	v_fmac_f32_e32 v36, v6, v20
	v_fma_f32 v6, -v24, v40, v39
	s_mov_b32 vcc_lo, s2
	v_div_fixup_f32 v10, v17, v7, v10
	s_delay_alu instid0(VALU_DEP_3) | instskip(NEXT) | instid1(VALU_DEP_3)
	v_fma_f32 v8, -v8, v36, v31
	v_fmac_f32_e32 v40, v6, v32
	s_delay_alu instid0(VALU_DEP_3) | instskip(NEXT) | instid1(VALU_DEP_3)
	v_pk_add_f32 v[10:11], v[18:19], v[10:11]
	v_div_fmas_f32 v6, v8, v20, v36
	v_fma_f32 v8, -v35, v25, v30
	s_mov_b32 vcc_lo, s3
	s_delay_alu instid0(VALU_DEP_2) | instskip(NEXT) | instid1(VALU_DEP_2)
	v_div_fixup_f32 v6, v6, v29, v28
	v_fmac_f32_e32 v25, v8, v34
	s_delay_alu instid0(VALU_DEP_2) | instskip(NEXT) | instid1(VALU_DEP_2)
	v_add_f32_e32 v6, v12, v6
	v_dual_fma_f32 v20, -v24, v40, v39 :: v_dual_fma_f32 v17, -v35, v25, v30
	s_delay_alu instid0(VALU_DEP_1) | instskip(SKIP_1) | instid1(VALU_DEP_1)
	v_div_fmas_f32 v8, v20, v32, v40
	s_mov_b32 vcc_lo, s1
	v_div_fixup_f32 v3, v8, v3, v15
	s_delay_alu instid0(VALU_DEP_3) | instskip(SKIP_1) | instid1(VALU_DEP_3)
	v_div_fmas_f32 v8, v17, v34, v25
	v_cmp_lt_f32_e32 vcc_lo, v16, v9
	v_add_f32_e32 v3, v3, v6
	s_delay_alu instid0(VALU_DEP_3) | instskip(SKIP_3) | instid1(VALU_DEP_4)
	v_div_fixup_f32 v8, v8, v7, v14
	v_cndmask_b32_e32 v17, v9, v16, vcc_lo
	v_cmp_lt_f32_e32 vcc_lo, v4, v22
	v_dual_mov_b32 v16, v7 :: v_dual_add_f32 v5, v5, v2
	v_add_f32_e32 v12, v8, v3
	v_mov_b64_e32 v[14:15], v[10:11]
	v_cndmask_b32_e32 v4, v4, v22, vcc_lo
	s_delay_alu instid0(VALU_DEP_4)
	v_mov_b64_e32 v[8:9], v[16:17]
	v_dual_mov_b32 v2, v7 :: v_dual_mov_b32 v3, v17
.LBB0_15:
	s_or_b32 exec_lo, exec_lo, s5
	v_cmp_gt_u32_e32 vcc_lo, 28, v1
	s_mov_b32 s5, exec_lo
	s_wait_dscnt 0x3
	v_cndmask_b32_e64 v6, 0, 4, vcc_lo
	s_delay_alu instid0(VALU_DEP_1)
	v_add_lshl_u32 v20, v6, v1, 2
	ds_bpermute_b32 v21, v20, v7
	ds_bpermute_b32 v16, v20, v17
	;; [unrolled: 1-line block ×4, first 2 shown]
	s_wait_dscnt 0x6
	ds_bpermute_b32 v19, v20, v11
	s_wait_dscnt 0x6
	ds_bpermute_b32 v18, v20, v10
	s_wait_dscnt 0x6
	ds_bpermute_b32 v23, v20, v12
	v_add_nc_u32_e32 v20, 4, v1
	s_delay_alu instid0(VALU_DEP_1)
	v_cmpx_lt_u32_e64 v20, v13
	s_cbranch_execz .LBB0_17
; %bb.16:
	v_dual_mov_b32 v10, v8 :: v_dual_mov_b32 v11, v15
	s_wait_dscnt 0x2
	v_mov_b32_e32 v20, v19
	v_dual_mul_f32 v24, v15, v21 :: v_dual_mov_b32 v33, v8
	v_mov_b32_e32 v34, v21
	v_mov_b32_e32 v30, 0x40400000
	s_wait_dscnt 0x1
	v_pk_add_f32 v[26:27], v[14:15], v[18:19]
	v_pk_fma_f32 v[10:11], v[10:11], v[20:21], v[24:25] op_sel_hi:[1,1,0] neg_lo:[0,0,1] neg_hi:[0,0,1]
	v_dual_mov_b32 v20, v8 :: v_dual_sub_f32 v24, v6, v5
	v_dual_mul_f32 v32, v21, v21 :: v_dual_sub_f32 v11, v2, v21
	v_mov_b32_e32 v38, v21
	s_delay_alu instid0(VALU_DEP_3) | instskip(SKIP_2) | instid1(VALU_DEP_3)
	v_pk_mul_f32 v[28:29], v[8:9], v[20:21] op_sel_hi:[0,1]
	v_mov_b32_e32 v31, v8
	v_dual_mul_f32 v25, v24, v24 :: v_dual_mov_b32 v27, v15
	v_dual_mov_b32 v39, v32 :: v_dual_mov_b32 v6, v29
	v_mov_b64_e32 v[36:37], 0x40c0000040800000
	s_delay_alu instid0(VALU_DEP_3)
	v_mul_f32_e32 v3, v24, v25
	v_pk_mul_f32 v[30:31], v[30:31], v[24:25]
	s_wait_dscnt 0x0
	v_add_f32_e32 v12, v12, v23
	v_pk_fma_f32 v[6:7], v[8:9], v[20:21], v[6:7] op_sel_hi:[0,1,1] neg_lo:[0,0,1] neg_hi:[0,0,1]
	v_dual_mov_b32 v7, v21 :: v_dual_mul_f32 v17, v2, v3
	v_mul_f32_e32 v3, v24, v3
	s_delay_alu instid0(VALU_DEP_2) | instskip(NEXT) | instid1(VALU_DEP_3)
	v_pk_add_f32 v[6:7], v[32:33], v[6:7]
	v_dual_mul_f32 v33, v24, v21 :: v_dual_mul_f32 v17, v17, v21
	s_delay_alu instid0(VALU_DEP_3) | instskip(SKIP_1) | instid1(VALU_DEP_4)
	v_mul_f32_e32 v2, v2, v3
	v_pk_mul_f32 v[14:15], v[14:15], v[38:39]
	v_dual_mov_b32 v3, v7 :: v_dual_mov_b32 v35, v7
	s_delay_alu instid0(VALU_DEP_4) | instskip(SKIP_1) | instid1(VALU_DEP_3)
	v_div_scale_f32 v40, null, v7, v7, v33
	v_dual_mul_f32 v17, v11, v17 :: v_dual_mov_b32 v11, v21
	v_pk_mul_f32 v[2:3], v[2:3], v[34:35]
	s_delay_alu instid0(VALU_DEP_3)
	v_rcp_f32_e32 v32, v40
	v_mov_b32_e32 v21, v28
	v_pk_mul_f32 v[24:25], v[24:25], v[36:37]
	v_pk_mul_f32 v[10:11], v[30:31], v[10:11]
	v_div_scale_f32 v34, null, v3, v3, v17
	v_div_scale_f32 v31, s0, v17, v3, v17
	s_delay_alu instid0(TRANS32_DEP_1) | instskip(NEXT) | instid1(VALU_DEP_3)
	v_fma_f32 v28, -v40, v32, 1.0
	v_rcp_f32_e32 v35, v34
	v_div_scale_f32 v30, null, v7, v7, v11
	v_div_scale_f32 v38, null, v7, v7, v10
	s_delay_alu instid0(VALU_DEP_3) | instskip(SKIP_1) | instid1(TRANS32_DEP_1)
	v_fmac_f32_e32 v32, v28, v32
	v_pk_fma_f32 v[20:21], v[20:21], v[18:19], v[14:15]
	v_fma_f32 v28, -v34, v35, 1.0
	v_div_scale_f32 v20, vcc_lo, v33, v7, v33
	v_rcp_f32_e32 v37, v30
	v_pk_fma_f32 v[14:15], v[8:9], v[18:19], v[14:15] neg_lo:[0,0,1] neg_hi:[0,0,1]
	s_delay_alu instid0(VALU_DEP_3) | instskip(NEXT) | instid1(VALU_DEP_3)
	v_fmac_f32_e32 v35, v28, v35
	v_dual_mul_f32 v36, v20, v32 :: v_dual_mov_b32 v15, v21
	v_rcp_f32_e32 v44, v38
	v_div_scale_f32 v41, s1, v11, v7, v11
	s_delay_alu instid0(VALU_DEP_2) | instskip(SKIP_2) | instid1(TRANS32_DEP_1)
	v_dual_mul_f32 v39, v31, v35 :: v_dual_fma_f32 v28, -v40, v36, v20
	v_fma_f32 v42, -v30, v37, 1.0
	v_pk_mul_f32 v[14:15], v[24:25], v[14:15]
	v_fma_f32 v18, -v38, v44, 1.0
	s_delay_alu instid0(VALU_DEP_4) | instskip(SKIP_3) | instid1(VALU_DEP_4)
	v_dual_fma_f32 v43, -v34, v39, v31 :: v_dual_fmac_f32 v36, v28, v32
	v_pk_mul_f32 v[28:29], v[6:7], v[2:3]
	v_fmac_f32_e32 v37, v42, v37
	v_div_scale_f32 v24, null, v3, v3, v15
	v_dual_fmac_f32 v39, v43, v35 :: v_dual_fma_f32 v2, -v40, v36, v20
	s_delay_alu instid0(VALU_DEP_4) | instskip(NEXT) | instid1(VALU_DEP_2)
	v_div_scale_f32 v8, null, v29, v29, v28
	v_dual_mul_f32 v21, v41, v37 :: v_dual_fma_f32 v6, -v34, v39, v31
	s_delay_alu instid0(VALU_DEP_3)
	v_div_fmas_f32 v2, v2, v32, v36
	v_rcp_f32_e32 v32, v24
	s_mov_b32 vcc_lo, s0
	v_rcp_f32_e32 v20, v8
	v_div_fmas_f32 v6, v6, v35, v39
	v_div_scale_f32 v35, null, v7, v7, v14
	v_div_scale_f32 v25, s0, v10, v7, v10
	s_delay_alu instid0(TRANS32_DEP_2) | instskip(NEXT) | instid1(TRANS32_DEP_1)
	v_fma_f32 v34, -v24, v32, 1.0
	v_fma_f32 v31, -v8, v20, 1.0
	v_div_scale_f32 v39, s3, v15, v3, v15
	s_mov_b32 vcc_lo, s1
	v_fmac_f32_e32 v32, v34, v32
	v_rcp_f32_e32 v34, v35
	v_fmac_f32_e32 v44, v18, v44
	v_div_fixup_f32 v18, v6, v3, v17
	v_dual_fma_f32 v6, -v30, v21, v41 :: v_dual_fmac_f32 v20, v31, v20
	v_div_scale_f32 v31, s2, v28, v29, v28
	s_delay_alu instid0(VALU_DEP_3) | instskip(NEXT) | instid1(VALU_DEP_3)
	v_pk_add_f32 v[18:19], v[26:27], v[18:19]
	v_fmac_f32_e32 v21, v6, v37
	v_div_fixup_f32 v2, v2, v7, v33
	s_delay_alu instid0(VALU_DEP_2) | instskip(SKIP_1) | instid1(VALU_DEP_1)
	v_dual_mul_f32 v36, v31, v20 :: v_dual_fma_f32 v30, -v30, v21, v41
	v_fma_f32 v41, -v35, v34, 1.0
	v_fmac_f32_e32 v34, v41, v34
	v_mul_f32_e32 v17, v25, v44
	s_delay_alu instid0(VALU_DEP_1) | instskip(NEXT) | instid1(VALU_DEP_1)
	v_fma_f32 v6, -v38, v17, v25
	v_fmac_f32_e32 v17, v6, v44
	v_fma_f32 v6, -v8, v36, v31
	v_mul_f32_e32 v40, v39, v32
	v_div_fmas_f32 v21, v30, v37, v21
	v_div_scale_f32 v30, s1, v14, v7, v14
	v_fma_f32 v25, -v38, v17, v25
	s_mov_b32 vcc_lo, s0
	s_delay_alu instid0(VALU_DEP_3) | instskip(NEXT) | instid1(VALU_DEP_2)
	v_div_fixup_f32 v11, v21, v7, v11
	v_div_fmas_f32 v17, v25, v44, v17
	v_mul_f32_e32 v25, v30, v34
	v_fmac_f32_e32 v36, v6, v20
	v_fma_f32 v6, -v24, v40, v39
	s_mov_b32 vcc_lo, s2
	v_div_fixup_f32 v10, v17, v7, v10
	s_delay_alu instid0(VALU_DEP_3) | instskip(NEXT) | instid1(VALU_DEP_3)
	v_fma_f32 v8, -v8, v36, v31
	v_fmac_f32_e32 v40, v6, v32
	s_delay_alu instid0(VALU_DEP_3) | instskip(NEXT) | instid1(VALU_DEP_3)
	v_pk_add_f32 v[10:11], v[18:19], v[10:11]
	v_div_fmas_f32 v6, v8, v20, v36
	v_fma_f32 v8, -v35, v25, v30
	s_mov_b32 vcc_lo, s3
	s_delay_alu instid0(VALU_DEP_2) | instskip(NEXT) | instid1(VALU_DEP_2)
	v_div_fixup_f32 v6, v6, v29, v28
	v_fmac_f32_e32 v25, v8, v34
	s_delay_alu instid0(VALU_DEP_2) | instskip(NEXT) | instid1(VALU_DEP_2)
	v_add_f32_e32 v6, v12, v6
	v_dual_fma_f32 v20, -v24, v40, v39 :: v_dual_fma_f32 v17, -v35, v25, v30
	s_delay_alu instid0(VALU_DEP_1) | instskip(SKIP_1) | instid1(VALU_DEP_1)
	v_div_fmas_f32 v8, v20, v32, v40
	s_mov_b32 vcc_lo, s1
	v_div_fixup_f32 v3, v8, v3, v15
	s_delay_alu instid0(VALU_DEP_3) | instskip(SKIP_1) | instid1(VALU_DEP_3)
	v_div_fmas_f32 v8, v17, v34, v25
	v_cmp_lt_f32_e32 vcc_lo, v16, v9
	v_add_f32_e32 v3, v3, v6
	s_delay_alu instid0(VALU_DEP_3) | instskip(SKIP_3) | instid1(VALU_DEP_4)
	v_div_fixup_f32 v8, v8, v7, v14
	v_cndmask_b32_e32 v17, v9, v16, vcc_lo
	v_cmp_lt_f32_e32 vcc_lo, v4, v22
	v_dual_mov_b32 v16, v7 :: v_dual_add_f32 v5, v5, v2
	v_add_f32_e32 v12, v8, v3
	v_mov_b64_e32 v[14:15], v[10:11]
	v_cndmask_b32_e32 v4, v4, v22, vcc_lo
	s_delay_alu instid0(VALU_DEP_4)
	v_mov_b64_e32 v[8:9], v[16:17]
	v_dual_mov_b32 v2, v7 :: v_dual_mov_b32 v3, v17
.LBB0_17:
	s_or_b32 exec_lo, exec_lo, s5
	v_cmp_gt_u32_e32 vcc_lo, 24, v1
	s_mov_b32 s5, exec_lo
	s_wait_dscnt 0x3
	v_cndmask_b32_e64 v6, 0, 8, vcc_lo
	s_delay_alu instid0(VALU_DEP_1)
	v_add_lshl_u32 v20, v6, v1, 2
	ds_bpermute_b32 v21, v20, v7
	ds_bpermute_b32 v16, v20, v17
	;; [unrolled: 1-line block ×4, first 2 shown]
	s_wait_dscnt 0x6
	ds_bpermute_b32 v19, v20, v11
	s_wait_dscnt 0x6
	ds_bpermute_b32 v18, v20, v10
	;; [unrolled: 2-line block ×3, first 2 shown]
	v_add_nc_u32_e32 v20, 8, v1
	s_delay_alu instid0(VALU_DEP_1)
	v_cmpx_lt_u32_e64 v20, v13
	s_cbranch_execz .LBB0_19
; %bb.18:
	v_dual_mov_b32 v10, v8 :: v_dual_mov_b32 v11, v15
	s_wait_dscnt 0x2
	v_mov_b32_e32 v20, v19
	v_dual_mul_f32 v24, v15, v21 :: v_dual_mov_b32 v33, v8
	v_mov_b32_e32 v34, v21
	v_mov_b32_e32 v30, 0x40400000
	s_wait_dscnt 0x1
	v_pk_add_f32 v[26:27], v[14:15], v[18:19]
	v_pk_fma_f32 v[10:11], v[10:11], v[20:21], v[24:25] op_sel_hi:[1,1,0] neg_lo:[0,0,1] neg_hi:[0,0,1]
	v_dual_mov_b32 v20, v8 :: v_dual_sub_f32 v24, v6, v5
	v_dual_mul_f32 v32, v21, v21 :: v_dual_sub_f32 v11, v2, v21
	v_mov_b32_e32 v38, v21
	s_delay_alu instid0(VALU_DEP_3) | instskip(SKIP_2) | instid1(VALU_DEP_3)
	v_pk_mul_f32 v[28:29], v[8:9], v[20:21] op_sel_hi:[0,1]
	v_mov_b32_e32 v31, v8
	v_dual_mul_f32 v25, v24, v24 :: v_dual_mov_b32 v27, v15
	v_dual_mov_b32 v39, v32 :: v_dual_mov_b32 v6, v29
	v_mov_b64_e32 v[36:37], 0x40c0000040800000
	s_delay_alu instid0(VALU_DEP_3)
	v_mul_f32_e32 v3, v24, v25
	v_pk_mul_f32 v[30:31], v[30:31], v[24:25]
	s_wait_dscnt 0x0
	v_add_f32_e32 v12, v12, v23
	v_pk_fma_f32 v[6:7], v[8:9], v[20:21], v[6:7] op_sel_hi:[0,1,1] neg_lo:[0,0,1] neg_hi:[0,0,1]
	v_dual_mov_b32 v7, v21 :: v_dual_mul_f32 v17, v2, v3
	v_mul_f32_e32 v3, v24, v3
	s_delay_alu instid0(VALU_DEP_2) | instskip(NEXT) | instid1(VALU_DEP_3)
	v_pk_add_f32 v[6:7], v[32:33], v[6:7]
	v_dual_mul_f32 v33, v24, v21 :: v_dual_mul_f32 v17, v17, v21
	s_delay_alu instid0(VALU_DEP_3) | instskip(SKIP_1) | instid1(VALU_DEP_4)
	v_mul_f32_e32 v2, v2, v3
	v_pk_mul_f32 v[14:15], v[14:15], v[38:39]
	v_dual_mov_b32 v3, v7 :: v_dual_mov_b32 v35, v7
	s_delay_alu instid0(VALU_DEP_4) | instskip(SKIP_1) | instid1(VALU_DEP_3)
	v_div_scale_f32 v40, null, v7, v7, v33
	v_dual_mul_f32 v17, v11, v17 :: v_dual_mov_b32 v11, v21
	v_pk_mul_f32 v[2:3], v[2:3], v[34:35]
	s_delay_alu instid0(VALU_DEP_3)
	v_rcp_f32_e32 v32, v40
	v_mov_b32_e32 v21, v28
	v_pk_mul_f32 v[24:25], v[24:25], v[36:37]
	v_pk_mul_f32 v[10:11], v[30:31], v[10:11]
	v_div_scale_f32 v34, null, v3, v3, v17
	v_div_scale_f32 v31, s0, v17, v3, v17
	s_delay_alu instid0(TRANS32_DEP_1) | instskip(NEXT) | instid1(VALU_DEP_3)
	v_fma_f32 v28, -v40, v32, 1.0
	v_rcp_f32_e32 v35, v34
	v_div_scale_f32 v30, null, v7, v7, v11
	v_div_scale_f32 v38, null, v7, v7, v10
	s_delay_alu instid0(VALU_DEP_3) | instskip(SKIP_1) | instid1(TRANS32_DEP_1)
	v_fmac_f32_e32 v32, v28, v32
	v_pk_fma_f32 v[20:21], v[20:21], v[18:19], v[14:15]
	v_fma_f32 v28, -v34, v35, 1.0
	v_div_scale_f32 v20, vcc_lo, v33, v7, v33
	v_rcp_f32_e32 v37, v30
	v_pk_fma_f32 v[14:15], v[8:9], v[18:19], v[14:15] neg_lo:[0,0,1] neg_hi:[0,0,1]
	s_delay_alu instid0(VALU_DEP_3) | instskip(NEXT) | instid1(VALU_DEP_3)
	v_fmac_f32_e32 v35, v28, v35
	v_dual_mul_f32 v36, v20, v32 :: v_dual_mov_b32 v15, v21
	v_rcp_f32_e32 v44, v38
	v_div_scale_f32 v41, s1, v11, v7, v11
	s_delay_alu instid0(VALU_DEP_2) | instskip(SKIP_2) | instid1(TRANS32_DEP_1)
	v_dual_mul_f32 v39, v31, v35 :: v_dual_fma_f32 v28, -v40, v36, v20
	v_fma_f32 v42, -v30, v37, 1.0
	v_pk_mul_f32 v[14:15], v[24:25], v[14:15]
	v_fma_f32 v18, -v38, v44, 1.0
	s_delay_alu instid0(VALU_DEP_4) | instskip(SKIP_3) | instid1(VALU_DEP_4)
	v_dual_fma_f32 v43, -v34, v39, v31 :: v_dual_fmac_f32 v36, v28, v32
	v_pk_mul_f32 v[28:29], v[6:7], v[2:3]
	v_fmac_f32_e32 v37, v42, v37
	v_div_scale_f32 v24, null, v3, v3, v15
	v_dual_fmac_f32 v39, v43, v35 :: v_dual_fma_f32 v2, -v40, v36, v20
	s_delay_alu instid0(VALU_DEP_4) | instskip(NEXT) | instid1(VALU_DEP_2)
	v_div_scale_f32 v8, null, v29, v29, v28
	v_dual_mul_f32 v21, v41, v37 :: v_dual_fma_f32 v6, -v34, v39, v31
	s_delay_alu instid0(VALU_DEP_3)
	v_div_fmas_f32 v2, v2, v32, v36
	v_rcp_f32_e32 v32, v24
	s_mov_b32 vcc_lo, s0
	v_rcp_f32_e32 v20, v8
	v_div_fmas_f32 v6, v6, v35, v39
	v_div_scale_f32 v35, null, v7, v7, v14
	v_div_scale_f32 v25, s0, v10, v7, v10
	s_delay_alu instid0(TRANS32_DEP_2) | instskip(NEXT) | instid1(TRANS32_DEP_1)
	v_fma_f32 v34, -v24, v32, 1.0
	v_fma_f32 v31, -v8, v20, 1.0
	v_div_scale_f32 v39, s3, v15, v3, v15
	s_mov_b32 vcc_lo, s1
	v_fmac_f32_e32 v32, v34, v32
	v_rcp_f32_e32 v34, v35
	v_fmac_f32_e32 v44, v18, v44
	v_div_fixup_f32 v18, v6, v3, v17
	v_dual_fma_f32 v6, -v30, v21, v41 :: v_dual_fmac_f32 v20, v31, v20
	v_div_scale_f32 v31, s2, v28, v29, v28
	s_delay_alu instid0(VALU_DEP_3) | instskip(NEXT) | instid1(VALU_DEP_3)
	v_pk_add_f32 v[18:19], v[26:27], v[18:19]
	v_fmac_f32_e32 v21, v6, v37
	v_div_fixup_f32 v2, v2, v7, v33
	s_delay_alu instid0(VALU_DEP_2) | instskip(SKIP_1) | instid1(VALU_DEP_1)
	v_dual_mul_f32 v36, v31, v20 :: v_dual_fma_f32 v30, -v30, v21, v41
	v_fma_f32 v41, -v35, v34, 1.0
	v_fmac_f32_e32 v34, v41, v34
	v_mul_f32_e32 v17, v25, v44
	s_delay_alu instid0(VALU_DEP_1) | instskip(NEXT) | instid1(VALU_DEP_1)
	v_fma_f32 v6, -v38, v17, v25
	v_fmac_f32_e32 v17, v6, v44
	v_fma_f32 v6, -v8, v36, v31
	v_mul_f32_e32 v40, v39, v32
	v_div_fmas_f32 v21, v30, v37, v21
	v_div_scale_f32 v30, s1, v14, v7, v14
	v_fma_f32 v25, -v38, v17, v25
	s_mov_b32 vcc_lo, s0
	s_delay_alu instid0(VALU_DEP_3) | instskip(NEXT) | instid1(VALU_DEP_2)
	v_div_fixup_f32 v11, v21, v7, v11
	v_div_fmas_f32 v17, v25, v44, v17
	v_mul_f32_e32 v25, v30, v34
	v_fmac_f32_e32 v36, v6, v20
	v_fma_f32 v6, -v24, v40, v39
	s_mov_b32 vcc_lo, s2
	v_div_fixup_f32 v10, v17, v7, v10
	s_delay_alu instid0(VALU_DEP_3) | instskip(NEXT) | instid1(VALU_DEP_3)
	v_fma_f32 v8, -v8, v36, v31
	v_fmac_f32_e32 v40, v6, v32
	s_delay_alu instid0(VALU_DEP_3) | instskip(NEXT) | instid1(VALU_DEP_3)
	v_pk_add_f32 v[10:11], v[18:19], v[10:11]
	v_div_fmas_f32 v6, v8, v20, v36
	v_fma_f32 v8, -v35, v25, v30
	s_mov_b32 vcc_lo, s3
	s_delay_alu instid0(VALU_DEP_2) | instskip(NEXT) | instid1(VALU_DEP_2)
	v_div_fixup_f32 v6, v6, v29, v28
	v_fmac_f32_e32 v25, v8, v34
	s_delay_alu instid0(VALU_DEP_2) | instskip(NEXT) | instid1(VALU_DEP_2)
	v_add_f32_e32 v6, v12, v6
	v_dual_fma_f32 v20, -v24, v40, v39 :: v_dual_fma_f32 v17, -v35, v25, v30
	s_delay_alu instid0(VALU_DEP_1) | instskip(SKIP_1) | instid1(VALU_DEP_1)
	v_div_fmas_f32 v8, v20, v32, v40
	s_mov_b32 vcc_lo, s1
	v_div_fixup_f32 v3, v8, v3, v15
	s_delay_alu instid0(VALU_DEP_3) | instskip(SKIP_1) | instid1(VALU_DEP_3)
	v_div_fmas_f32 v8, v17, v34, v25
	v_cmp_lt_f32_e32 vcc_lo, v16, v9
	v_add_f32_e32 v3, v3, v6
	s_delay_alu instid0(VALU_DEP_3) | instskip(SKIP_3) | instid1(VALU_DEP_4)
	v_div_fixup_f32 v8, v8, v7, v14
	v_cndmask_b32_e32 v17, v9, v16, vcc_lo
	v_cmp_lt_f32_e32 vcc_lo, v4, v22
	v_dual_mov_b32 v16, v7 :: v_dual_add_f32 v5, v5, v2
	v_add_f32_e32 v12, v8, v3
	v_mov_b64_e32 v[14:15], v[10:11]
	v_cndmask_b32_e32 v4, v4, v22, vcc_lo
	s_delay_alu instid0(VALU_DEP_4)
	v_mov_b64_e32 v[8:9], v[16:17]
	v_dual_mov_b32 v2, v7 :: v_dual_mov_b32 v3, v17
.LBB0_19:
	s_or_b32 exec_lo, exec_lo, s5
	v_lshlrev_b32_e32 v20, 2, v1
	s_mov_b32 s5, exec_lo
	s_wait_dscnt 0x1
	s_delay_alu instid0(VALU_DEP_1)
	v_or_b32_e32 v18, 64, v20
	ds_bpermute_b32 v19, v18, v7
	ds_bpermute_b32 v17, v18, v17
	;; [unrolled: 1-line block ×7, first 2 shown]
	v_add_nc_u32_e32 v11, 16, v1
	s_delay_alu instid0(VALU_DEP_1)
	v_cmpx_lt_u32_e64 v11, v13
	s_cbranch_execz .LBB0_21
; %bb.20:
	s_wait_dscnt 0x7
	v_dual_mov_b32 v22, v8 :: v_dual_mov_b32 v23, v15
	s_wait_dscnt 0x2
	v_mov_b32_e32 v18, v7
	v_dual_mul_f32 v24, v15, v19 :: v_dual_mov_b32 v35, v8
	v_dual_mov_b32 v36, v19 :: v_dual_sub_f32 v11, v2, v19
	v_mov_b32_e32 v30, 0x40400000
	s_delay_alu instid0(VALU_DEP_3) | instskip(SKIP_4) | instid1(VALU_DEP_3)
	v_pk_fma_f32 v[22:23], v[22:23], v[18:19], v[24:25] op_sel_hi:[1,1,0] neg_lo:[0,0,1] neg_hi:[0,0,1]
	v_dual_mov_b32 v18, v8 :: v_dual_sub_f32 v24, v21, v5
	v_dual_mul_f32 v34, v19, v19 :: v_dual_mov_b32 v40, v19
	s_wait_dscnt 0x1
	v_pk_add_f32 v[26:27], v[14:15], v[6:7]
	v_pk_mul_f32 v[28:29], v[8:9], v[18:19] op_sel_hi:[0,1]
	v_mov_b32_e32 v31, v8
	v_dual_mul_f32 v25, v24, v24 :: v_dual_mov_b32 v27, v15
	s_delay_alu instid0(VALU_DEP_3) | instskip(SKIP_1) | instid1(VALU_DEP_3)
	v_dual_mov_b32 v41, v34 :: v_dual_mov_b32 v32, v29
	v_mov_b64_e32 v[38:39], 0x40c0000040800000
	v_mul_f32_e32 v13, v24, v25
	v_pk_mul_f32 v[30:31], v[30:31], v[24:25]
	s_wait_dscnt 0x0
	v_add_f32_e32 v12, v12, v10
	v_pk_fma_f32 v[32:33], v[8:9], v[18:19], v[32:33] op_sel_hi:[0,1,1] neg_lo:[0,0,1] neg_hi:[0,0,1]
	v_dual_mov_b32 v33, v19 :: v_dual_mul_f32 v21, v2, v13
	v_mul_f32_e32 v13, v24, v13
	s_delay_alu instid0(VALU_DEP_2) | instskip(NEXT) | instid1(VALU_DEP_3)
	v_pk_add_f32 v[32:33], v[34:35], v[32:33]
	v_dual_mul_f32 v35, v24, v19 :: v_dual_mul_f32 v21, v21, v19
	s_delay_alu instid0(VALU_DEP_3) | instskip(SKIP_1) | instid1(VALU_DEP_4)
	v_mul_f32_e32 v42, v2, v13
	v_pk_mul_f32 v[14:15], v[14:15], v[40:41]
	v_dual_mov_b32 v43, v33 :: v_dual_mov_b32 v37, v33
	s_delay_alu instid0(VALU_DEP_4) | instskip(SKIP_2) | instid1(VALU_DEP_4)
	v_div_scale_f32 v2, null, v33, v33, v35
	v_mul_f32_e32 v11, v11, v21
	v_pk_mul_f32 v[24:25], v[24:25], v[38:39]
	v_pk_mul_f32 v[36:37], v[42:43], v[36:37]
	s_delay_alu instid0(VALU_DEP_4) | instskip(SKIP_2) | instid1(VALU_DEP_3)
	v_rcp_f32_e32 v13, v2
	v_dual_mov_b32 v23, v19 :: v_dual_mov_b32 v19, v28
	v_pk_fma_f32 v[8:9], v[8:9], v[6:7], v[14:15] neg_lo:[0,0,1] neg_hi:[0,0,1]
	v_div_scale_f32 v21, null, v37, v37, v11
	s_delay_alu instid0(TRANS32_DEP_1) | instskip(NEXT) | instid1(VALU_DEP_4)
	v_fma_f32 v28, -v2, v13, 1.0
	v_pk_fma_f32 v[18:19], v[18:19], v[6:7], v[14:15]
	s_delay_alu instid0(VALU_DEP_3) | instskip(SKIP_1) | instid1(VALU_DEP_3)
	v_rcp_f32_e32 v34, v21
	v_div_scale_f32 v18, vcc_lo, v35, v33, v35
	v_fmac_f32_e32 v13, v28, v13
	v_pk_mul_f32 v[22:23], v[30:31], v[22:23]
	v_div_scale_f32 v31, s0, v11, v37, v11
	s_delay_alu instid0(TRANS32_DEP_1) | instskip(NEXT) | instid1(VALU_DEP_4)
	v_fma_f32 v28, -v21, v34, 1.0
	v_mul_f32_e32 v38, v18, v13
	s_delay_alu instid0(VALU_DEP_4) | instskip(SKIP_1) | instid1(VALU_DEP_4)
	v_div_scale_f32 v30, null, v33, v33, v23
	v_div_scale_f32 v40, null, v33, v33, v22
	v_fmac_f32_e32 v34, v28, v34
	s_delay_alu instid0(VALU_DEP_3) | instskip(SKIP_1) | instid1(VALU_DEP_3)
	v_rcp_f32_e32 v39, v30
	v_mov_b32_e32 v9, v19
	v_rcp_f32_e32 v45, v40
	v_div_scale_f32 v42, s1, v23, v33, v23
	v_mul_f32_e32 v41, v31, v34
	v_fma_f32 v28, -v2, v38, v18
	s_delay_alu instid0(TRANS32_DEP_2) | instskip(SKIP_1) | instid1(TRANS32_DEP_1)
	v_fma_f32 v43, -v30, v39, 1.0
	v_pk_mul_f32 v[8:9], v[24:25], v[8:9]
	v_fma_f32 v14, -v40, v45, 1.0
	v_fma_f32 v44, -v21, v41, v31
	v_fmac_f32_e32 v38, v28, v13
	v_pk_mul_f32 v[28:29], v[32:33], v[36:37]
	v_fmac_f32_e32 v39, v43, v39
	v_div_scale_f32 v19, null, v37, v37, v9
	s_delay_alu instid0(VALU_DEP_4) | instskip(NEXT) | instid1(VALU_DEP_3)
	v_fma_f32 v2, -v2, v38, v18
	v_dual_fmac_f32 v41, v44, v34 :: v_dual_mul_f32 v18, v42, v39
	s_delay_alu instid0(VALU_DEP_3) | instskip(SKIP_1) | instid1(VALU_DEP_3)
	v_rcp_f32_e32 v24, v19
	v_div_scale_f32 v32, null, v33, v33, v8
	v_div_fmas_f32 v2, v2, v13, v38
	v_div_scale_f32 v13, null, v29, v29, v28
	v_fma_f32 v6, -v21, v41, v31
	s_mov_b32 vcc_lo, s0
	s_delay_alu instid0(TRANS32_DEP_1) | instskip(NEXT) | instid1(VALU_DEP_3)
	v_fma_f32 v31, -v19, v24, 1.0
	v_rcp_f32_e32 v15, v13
	v_div_scale_f32 v36, s3, v9, v37, v9
	v_div_fmas_f32 v6, v6, v34, v41
	s_delay_alu instid0(VALU_DEP_3) | instskip(SKIP_2) | instid1(TRANS32_DEP_2)
	v_fmac_f32_e32 v24, v31, v24
	v_rcp_f32_e32 v31, v32
	s_mov_b32 vcc_lo, s1
	v_fma_f32 v21, -v13, v15, 1.0
	v_fmac_f32_e32 v45, v14, v45
	v_div_scale_f32 v14, s0, v22, v33, v22
	v_div_fixup_f32 v6, v6, v37, v11
	s_delay_alu instid0(VALU_DEP_4) | instskip(SKIP_3) | instid1(VALU_DEP_3)
	v_fmac_f32_e32 v15, v21, v15
	v_div_scale_f32 v21, s2, v28, v29, v28
	v_dual_fma_f32 v11, -v30, v18, v42 :: v_dual_mul_f32 v38, v36, v24
	v_fma_f32 v41, -v32, v31, 1.0
	v_dual_mul_f32 v34, v21, v15 :: v_dual_mul_f32 v25, v14, v45
	s_delay_alu instid0(VALU_DEP_3) | instskip(SKIP_1) | instid1(VALU_DEP_3)
	v_fmac_f32_e32 v18, v11, v39
	v_pk_add_f32 v[6:7], v[26:27], v[6:7]
	v_fma_f32 v11, -v40, v25, v14
	s_delay_alu instid0(VALU_DEP_1) | instskip(SKIP_1) | instid1(VALU_DEP_2)
	v_dual_fma_f32 v30, -v30, v18, v42 :: v_dual_fmac_f32 v25, v11, v45
	v_fma_f32 v11, -v13, v34, v21
	v_div_fmas_f32 v18, v30, v39, v18
	v_div_scale_f32 v30, s1, v8, v33, v8
	s_delay_alu instid0(VALU_DEP_4) | instskip(NEXT) | instid1(VALU_DEP_4)
	v_fma_f32 v14, -v40, v25, v14
	v_fmac_f32_e32 v34, v11, v15
	v_dual_fma_f32 v11, -v19, v38, v36 :: v_dual_fmac_f32 v31, v41, v31
	s_mov_b32 vcc_lo, s0
	s_delay_alu instid0(VALU_DEP_3) | instskip(NEXT) | instid1(VALU_DEP_2)
	v_div_fmas_f32 v14, v14, v45, v25
	v_dual_fmac_f32 v38, v11, v24 :: v_dual_fma_f32 v13, -v13, v34, v21
	s_delay_alu instid0(VALU_DEP_3) | instskip(SKIP_1) | instid1(VALU_DEP_2)
	v_mul_f32_e32 v21, v30, v31
	s_mov_b32 vcc_lo, s2
	v_fma_f32 v10, -v19, v38, v36
	s_delay_alu instid0(VALU_DEP_3) | instskip(NEXT) | instid1(VALU_DEP_3)
	v_div_fmas_f32 v11, v13, v15, v34
	v_fma_f32 v13, -v32, v21, v30
	s_mov_b32 vcc_lo, s3
	s_delay_alu instid0(VALU_DEP_2) | instskip(NEXT) | instid1(VALU_DEP_2)
	v_div_fixup_f32 v15, v11, v29, v28
	v_fmac_f32_e32 v21, v13, v31
	v_div_fmas_f32 v13, v10, v24, v38
	v_div_fixup_f32 v10, v14, v33, v22
	s_mov_b32 vcc_lo, s1
	v_add_f32_e32 v12, v12, v15
	v_div_fixup_f32 v11, v18, v33, v23
	v_div_fixup_f32 v9, v13, v37, v9
	v_fma_f32 v14, -v32, v21, v30
	s_delay_alu instid0(VALU_DEP_1) | instskip(SKIP_2) | instid1(VALU_DEP_3)
	v_div_fmas_f32 v13, v14, v31, v21
	v_cmp_gt_f32_e32 vcc_lo, v3, v17
	v_pk_add_f32 v[14:15], v[6:7], v[10:11]
	v_div_fixup_f32 v6, v13, v33, v8
	v_cndmask_b32_e32 v3, v3, v17, vcc_lo
	v_div_fixup_f32 v17, v2, v33, v35
	v_mov_b32_e32 v2, v33
	v_add_f32_e32 v7, v9, v12
	v_cmp_lt_f32_e32 vcc_lo, v4, v16
	s_delay_alu instid0(VALU_DEP_4) | instskip(NEXT) | instid1(VALU_DEP_4)
	v_add_f32_e32 v5, v5, v17
	v_mov_b64_e32 v[8:9], v[2:3]
	s_delay_alu instid0(VALU_DEP_4)
	v_dual_add_f32 v12, v6, v7 :: v_dual_cndmask_b32 v4, v4, v16, vcc_lo
.LBB0_21:
	s_or_b32 exec_lo, exec_lo, s5
	s_delay_alu instid0(SALU_CYCLE_1)
	s_mov_b32 s0, exec_lo
	v_cmpx_eq_u32_e32 0, v1
	s_cbranch_execz .LBB0_23
; %bb.22:
	s_wait_dscnt 0x1
	v_lshrrev_b32_e32 v6, 5, v0
	s_delay_alu instid0(VALU_DEP_1)
	v_mul_u32_u24_e32 v6, 28, v6
	ds_store_2addr_b32 v6, v8, v9 offset1:1
	ds_store_2addr_b32 v6, v4, v5 offset0:2 offset1:3
	ds_store_2addr_b32 v6, v15, v14 offset0:4 offset1:5
	ds_store_b32 v6, v12 offset:24
.LBB0_23:
	s_or_b32 exec_lo, exec_lo, s0
	s_delay_alu instid0(SALU_CYCLE_1)
	s_mov_b32 s5, exec_lo
	s_wait_dscnt 0x0
	s_barrier_signal -1
	s_barrier_wait -1
	v_cmpx_gt_u32_e32 8, v0
	s_cbranch_execz .LBB0_31
; %bb.24:
	v_mul_u32_u24_e32 v2, 28, v1
	v_and_b32_e32 v13, 7, v1
	s_add_co_i32 s4, s4, 31
	ds_load_2addr_b32 v[6:7], v2 offset1:1
	ds_load_2addr_b32 v[4:5], v2 offset0:2 offset1:3
	ds_load_2addr_b32 v[8:9], v2 offset0:4 offset1:5
	ds_load_b32 v12, v2 offset:24
	v_cmp_ne_u32_e32 vcc_lo, 7, v13
	s_lshr_b32 s6, s4, 5
	v_add_co_ci_u32_e64 v2, null, 0, v1, vcc_lo
	s_delay_alu instid0(VALU_DEP_1)
	v_lshlrev_b32_e32 v2, 2, v2
	s_wait_dscnt 0x3
	ds_bpermute_b32 v17, v2, v6
	ds_bpermute_b32 v19, v2, v7
	s_wait_dscnt 0x4
	ds_bpermute_b32 v18, v2, v4
	ds_bpermute_b32 v22, v2, v5
	;; [unrolled: 3-line block ×3, first 2 shown]
	s_wait_dscnt 0x6
	ds_bpermute_b32 v21, v2, v12
	v_dual_add_nc_u32 v2, 1, v13 :: v_dual_mov_b32 v14, v9
	v_dual_mov_b32 v15, v8 :: v_dual_mov_b32 v3, v7
	s_delay_alu instid0(VALU_DEP_2)
	v_cmp_gt_u32_e32 vcc_lo, s6, v2
	v_mov_b32_e32 v2, v6
	s_and_saveexec_b32 s7, vcc_lo
	s_cbranch_execz .LBB0_26
; %bb.25:
	v_dual_mov_b32 v2, v6 :: v_dual_mov_b32 v3, v8
	s_wait_dscnt 0x2
	v_dual_mov_b32 v16, v11 :: v_dual_mul_f32 v24, v8, v17
	v_dual_mov_b32 v29, v6 :: v_dual_mul_f32 v32, v17, v17
	v_mov_b32_e32 v33, v6
	s_wait_dscnt 0x1
	v_pk_add_f32 v[26:27], v[14:15], v[10:11]
	v_pk_fma_f32 v[2:3], v[2:3], v[16:17], v[24:25] op_sel_hi:[1,1,0] neg_lo:[0,0,1] neg_hi:[0,0,1]
	v_dual_mov_b32 v16, v6 :: v_dual_sub_f32 v3, v6, v17
	v_mov_b64_e32 v[38:39], 0x40c0000040800000
	s_wait_dscnt 0x0
	v_add_f32_e32 v12, v12, v21
	v_mov_b32_e32 v27, v8
	v_pk_mul_f32 v[24:25], v[6:7], v[16:17] op_sel_hi:[0,1]
	s_delay_alu instid0(VALU_DEP_1) | instskip(NEXT) | instid1(VALU_DEP_1)
	v_dual_sub_f32 v22, v22, v5 :: v_dual_mov_b32 v30, v25
	v_dual_mov_b32 v28, 0x40400000 :: v_dual_mul_f32 v23, v22, v22
	s_delay_alu instid0(VALU_DEP_2) | instskip(NEXT) | instid1(VALU_DEP_2)
	v_pk_fma_f32 v[30:31], v[6:7], v[16:17], v[30:31] op_sel_hi:[0,1,1] neg_lo:[0,0,1] neg_hi:[0,0,1]
	v_dual_mov_b32 v31, v17 :: v_dual_mul_f32 v9, v22, v23
	v_mov_b32_e32 v34, v17
	s_delay_alu instid0(VALU_DEP_4) | instskip(NEXT) | instid1(VALU_DEP_3)
	v_pk_mul_f32 v[28:29], v[28:29], v[22:23]
	v_pk_add_f32 v[30:31], v[32:33], v[30:31]
	s_delay_alu instid0(VALU_DEP_4) | instskip(SKIP_1) | instid1(VALU_DEP_3)
	v_mul_f32_e32 v16, v6, v9
	v_dual_mul_f32 v21, v22, v9 :: v_dual_mov_b32 v9, v11
	v_dual_mul_f32 v33, v22, v17 :: v_dual_mov_b32 v37, v31
	s_delay_alu instid0(VALU_DEP_3) | instskip(NEXT) | instid1(VALU_DEP_3)
	v_mul_f32_e32 v16, v16, v17
	v_dual_mul_f32 v36, v6, v21 :: v_dual_mov_b32 v35, v31
	s_delay_alu instid0(VALU_DEP_3) | instskip(NEXT) | instid1(VALU_DEP_3)
	v_div_scale_f32 v21, null, v31, v31, v33
	v_dual_mul_f32 v40, v3, v16 :: v_dual_mov_b32 v16, v6
	v_mov_b32_e32 v3, v17
	s_delay_alu instid0(VALU_DEP_4) | instskip(NEXT) | instid1(VALU_DEP_4)
	v_pk_mul_f32 v[34:35], v[36:37], v[34:35]
	v_rcp_f32_e32 v41, v21
	v_dual_mov_b32 v36, v17 :: v_dual_mov_b32 v37, v32
	s_delay_alu instid0(VALU_DEP_3) | instskip(NEXT) | instid1(VALU_DEP_3)
	v_pk_mul_f32 v[2:3], v[28:29], v[2:3]
	v_div_scale_f32 v42, null, v35, v35, v40
	v_div_scale_f32 v25, vcc_lo, v33, v31, v33
	s_delay_alu instid0(TRANS32_DEP_1) | instskip(NEXT) | instid1(VALU_DEP_3)
	v_fma_f32 v17, -v21, v41, 1.0
	v_rcp_f32_e32 v28, v42
	v_div_scale_f32 v29, null, v31, v31, v3
	v_div_scale_f32 v43, s0, v40, v35, v40
	s_delay_alu instid0(VALU_DEP_3) | instskip(NEXT) | instid1(VALU_DEP_3)
	v_fmac_f32_e32 v41, v17, v41
	v_rcp_f32_e32 v45, v29
	s_delay_alu instid0(TRANS32_DEP_2) | instskip(SKIP_3) | instid1(VALU_DEP_4)
	v_fma_f32 v17, -v42, v28, 1.0
	v_pk_mul_f32 v[14:15], v[14:15], v[36:37]
	v_div_scale_f32 v32, null, v31, v31, v2
	v_div_scale_f32 v46, s1, v3, v31, v3
	v_fmac_f32_e32 v28, v17, v28
	v_dual_mul_f32 v44, v25, v41 :: v_dual_mov_b32 v17, v24
	v_fma_f32 v24, -v29, v45, 1.0
	v_rcp_f32_e32 v37, v32
	v_pk_mul_f32 v[22:23], v[22:23], v[38:39]
	s_delay_alu instid0(VALU_DEP_3) | instskip(NEXT) | instid1(VALU_DEP_3)
	v_fma_f32 v8, -v21, v44, v25
	v_dual_mul_f32 v36, v43, v28 :: v_dual_fmac_f32 v45, v24, v45
	v_pk_fma_f32 v[16:17], v[16:17], v[10:11], v[14:15]
	v_pk_fma_f32 v[10:11], v[6:7], v[10:11], v[14:15] neg_lo:[0,0,1] neg_hi:[0,0,1]
	s_delay_alu instid0(VALU_DEP_3) | instskip(SKIP_1) | instid1(VALU_DEP_4)
	v_dual_fmac_f32 v44, v8, v41 :: v_dual_fma_f32 v8, -v42, v36, v43
	v_fma_f32 v47, -v32, v37, 1.0
	v_dual_mov_b32 v11, v17 :: v_dual_mul_f32 v15, v46, v45
	s_delay_alu instid0(VALU_DEP_3) | instskip(NEXT) | instid1(VALU_DEP_4)
	v_fma_f32 v21, -v21, v44, v25
	v_fmac_f32_e32 v36, v8, v28
	v_pk_mul_f32 v[24:25], v[30:31], v[34:35]
	v_fmac_f32_e32 v37, v47, v37
	v_pk_mul_f32 v[10:11], v[22:23], v[10:11]
	v_div_fmas_f32 v16, v21, v41, v44
	v_fma_f32 v8, -v42, v36, v43
	s_mov_b32 vcc_lo, s0
	v_div_scale_f32 v14, null, v25, v25, v24
	v_div_scale_f32 v21, s0, v2, v31, v2
	s_delay_alu instid0(VALU_DEP_3) | instskip(SKIP_2) | instid1(VALU_DEP_3)
	v_div_fmas_f32 v6, v8, v28, v36
	v_div_scale_f32 v17, null, v35, v35, v11
	v_div_scale_f32 v28, null, v31, v31, v10
	v_div_fixup_f32 v8, v6, v35, v40
	v_rcp_f32_e32 v6, v14
	s_mov_b32 vcc_lo, s1
	s_delay_alu instid0(VALU_DEP_2) | instskip(NEXT) | instid1(VALU_DEP_1)
	v_rcp_f32_e32 v34, v28
	v_pk_add_f32 v[8:9], v[26:27], v[8:9]
	v_rcp_f32_e32 v26, v17
	s_delay_alu instid0(TRANS32_DEP_3) | instskip(SKIP_1) | instid1(TRANS32_DEP_2)
	v_fma_f32 v23, -v14, v6, 1.0
	v_mul_f32_e32 v27, v21, v37
	v_fma_f32 v38, -v28, v34, 1.0
	s_delay_alu instid0(VALU_DEP_3) | instskip(SKIP_3) | instid1(VALU_DEP_2)
	v_fmac_f32_e32 v6, v23, v6
	v_div_scale_f32 v23, s2, v24, v25, v24
	v_fma_f32 v22, -v29, v15, v46
	v_fma_f32 v30, -v17, v26, 1.0
	v_dual_mul_f32 v36, v23, v6 :: v_dual_fmac_f32 v15, v22, v45
	v_fma_f32 v22, -v32, v27, v21
	s_delay_alu instid0(VALU_DEP_1) | instskip(NEXT) | instid1(VALU_DEP_3)
	v_dual_fma_f32 v29, -v29, v15, v46 :: v_dual_fmac_f32 v27, v22, v37
	v_fma_f32 v22, -v14, v36, v23
	v_fmac_f32_e32 v26, v30, v26
	v_div_scale_f32 v30, s3, v11, v35, v11
	s_delay_alu instid0(VALU_DEP_3) | instskip(SKIP_2) | instid1(VALU_DEP_2)
	v_dual_fma_f32 v21, -v32, v27, v21 :: v_dual_fmac_f32 v36, v22, v6
	v_div_fmas_f32 v15, v29, v45, v15
	s_mov_b32 vcc_lo, s0
	v_div_fmas_f32 v21, v21, v37, v27
	s_delay_alu instid0(VALU_DEP_3) | instskip(SKIP_2) | instid1(VALU_DEP_2)
	v_fma_f32 v14, -v14, v36, v23
	s_mov_b32 vcc_lo, s2
	v_div_fixup_f32 v15, v15, v31, v3
	v_div_fmas_f32 v6, v14, v6, v36
	v_div_fixup_f32 v14, v21, v31, v2
	s_mov_b32 vcc_lo, s3
	s_delay_alu instid0(VALU_DEP_2) | instskip(SKIP_3) | instid1(VALU_DEP_2)
	v_div_fixup_f32 v3, v6, v25, v24
	v_fmac_f32_e32 v34, v38, v34
	v_div_scale_f32 v38, s4, v10, v31, v10
	v_pk_add_f32 v[14:15], v[8:9], v[14:15]
	v_dual_add_f32 v12, v12, v3 :: v_dual_mul_f32 v29, v38, v34
	v_mul_f32_e32 v39, v30, v26
	s_delay_alu instid0(VALU_DEP_3) | instskip(NEXT) | instid1(VALU_DEP_3)
	v_dual_mov_b32 v9, v14 :: v_dual_mov_b32 v8, v15
	v_fma_f32 v23, -v28, v29, v38
	s_delay_alu instid0(VALU_DEP_3) | instskip(NEXT) | instid1(VALU_DEP_1)
	v_fma_f32 v22, -v17, v39, v30
	v_fmac_f32_e32 v39, v22, v26
	s_delay_alu instid0(VALU_DEP_1) | instskip(NEXT) | instid1(VALU_DEP_1)
	v_dual_fma_f32 v2, -v17, v39, v30 :: v_dual_fmac_f32 v29, v23, v34
	v_fma_f32 v6, -v28, v29, v38
	s_delay_alu instid0(VALU_DEP_2) | instskip(SKIP_1) | instid1(VALU_DEP_1)
	v_div_fmas_f32 v2, v2, v26, v39
	s_mov_b32 vcc_lo, s4
	v_div_fixup_f32 v2, v2, v35, v11
	s_delay_alu instid0(VALU_DEP_1) | instskip(SKIP_2) | instid1(VALU_DEP_2)
	v_add_f32_e32 v2, v2, v12
	v_div_fmas_f32 v6, v6, v34, v29
	v_cmp_lt_f32_e32 vcc_lo, v19, v7
	v_div_fixup_f32 v6, v6, v31, v10
	v_cndmask_b32_e32 v3, v7, v19, vcc_lo
	v_div_fixup_f32 v7, v16, v31, v33
	v_cmp_lt_f32_e32 vcc_lo, v4, v18
	s_delay_alu instid0(VALU_DEP_4) | instskip(NEXT) | instid1(VALU_DEP_3)
	v_dual_add_f32 v12, v6, v2 :: v_dual_mov_b32 v6, v31
	v_dual_add_f32 v5, v5, v7 :: v_dual_cndmask_b32 v4, v4, v18
	v_dual_mov_b32 v7, v3 :: v_dual_mov_b32 v2, v31
.LBB0_26:
	s_or_b32 exec_lo, exec_lo, s7
	v_cmp_gt_u32_e32 vcc_lo, 6, v13
	s_wait_dscnt 0x1
	v_cndmask_b32_e64 v10, 0, 2, vcc_lo
	s_delay_alu instid0(VALU_DEP_1)
	v_add_lshl_u32 v10, v10, v1, 2
	ds_bpermute_b32 v19, v10, v6
	ds_bpermute_b32 v1, v10, v7
	s_wait_dscnt 0x2
	ds_bpermute_b32 v21, v10, v4
	ds_bpermute_b32 v23, v10, v5
	;; [unrolled: 1-line block ×5, first 2 shown]
	v_add_nc_u32_e32 v10, 2, v13
	s_delay_alu instid0(VALU_DEP_1)
	v_cmp_gt_u32_e32 vcc_lo, s6, v10
	v_mov_b64_e32 v[10:11], v[2:3]
	s_and_saveexec_b32 s7, vcc_lo
	s_cbranch_execz .LBB0_28
; %bb.27:
	v_dual_mov_b32 v6, v2 :: v_dual_mov_b32 v7, v15
	s_wait_dscnt 0x2
	v_dual_mov_b32 v18, v17 :: v_dual_mul_f32 v8, v15, v19
	v_dual_mov_b32 v27, v2 :: v_dual_mul_f32 v30, v19, v19
	v_mov_b32_e32 v26, 0x40400000
	s_wait_dscnt 0x1
	v_pk_add_f32 v[24:25], v[14:15], v[16:17]
	v_pk_fma_f32 v[6:7], v[6:7], v[18:19], v[8:9] op_sel_hi:[1,1,0] neg_lo:[0,0,1] neg_hi:[0,0,1]
	v_dual_mov_b32 v18, v2 :: v_dual_sub_f32 v8, v23, v5
	v_sub_f32_e32 v7, v2, v19
	v_mov_b64_e32 v[34:35], 0x40c0000040800000
	s_wait_dscnt 0x0
	v_add_f32_e32 v12, v12, v22
	v_pk_mul_f32 v[10:11], v[2:3], v[18:19] op_sel_hi:[0,1]
	v_dual_mul_f32 v9, v8, v8 :: v_dual_mov_b32 v31, v2
	s_delay_alu instid0(VALU_DEP_2) | instskip(NEXT) | instid1(VALU_DEP_2)
	v_dual_mov_b32 v25, v15 :: v_dual_mov_b32 v28, v11
	v_dual_mul_f32 v11, v8, v9 :: v_dual_mov_b32 v22, v19
	v_pk_mul_f32 v[26:27], v[26:27], v[8:9]
	s_delay_alu instid0(VALU_DEP_3) | instskip(NEXT) | instid1(VALU_DEP_3)
	v_pk_fma_f32 v[28:29], v[2:3], v[18:19], v[28:29] op_sel_hi:[0,1,1] neg_lo:[0,0,1] neg_hi:[0,0,1]
	v_dual_mov_b32 v29, v19 :: v_dual_mul_f32 v18, v2, v11
	v_dual_mul_f32 v23, v8, v11 :: v_dual_mov_b32 v11, v17
	s_delay_alu instid0(VALU_DEP_2) | instskip(NEXT) | instid1(VALU_DEP_3)
	v_pk_add_f32 v[28:29], v[30:31], v[28:29]
	v_dual_mul_f32 v31, v8, v19 :: v_dual_mul_f32 v18, v18, v19
	s_delay_alu instid0(VALU_DEP_3) | instskip(SKIP_1) | instid1(VALU_DEP_4)
	v_mul_f32_e32 v32, v2, v23
	v_pk_mul_f32 v[8:9], v[8:9], v[34:35]
	v_dual_mov_b32 v33, v29 :: v_dual_mov_b32 v23, v29
	s_delay_alu instid0(VALU_DEP_4) | instskip(SKIP_2) | instid1(VALU_DEP_4)
	v_mul_f32_e32 v37, v7, v18
	v_div_scale_f32 v36, null, v29, v29, v31
	v_dual_mov_b32 v7, v19 :: v_dual_mov_b32 v18, v2
	v_pk_mul_f32 v[22:23], v[32:33], v[22:23]
	s_delay_alu instid0(VALU_DEP_3) | instskip(SKIP_1) | instid1(VALU_DEP_3)
	v_rcp_f32_e32 v38, v36
	v_dual_mov_b32 v32, v19 :: v_dual_mov_b32 v33, v30
	v_pk_mul_f32 v[6:7], v[26:27], v[6:7]
	s_delay_alu instid0(VALU_DEP_3) | instskip(SKIP_1) | instid1(VALU_DEP_3)
	v_div_scale_f32 v39, null, v23, v23, v37
	v_div_scale_f32 v26, vcc_lo, v31, v29, v31
	v_div_scale_f32 v40, null, v29, v29, v7
	s_delay_alu instid0(VALU_DEP_3) | instskip(SKIP_2) | instid1(VALU_DEP_3)
	v_rcp_f32_e32 v30, v39
	v_fma_f32 v19, -v36, v38, 1.0
	v_div_scale_f32 v41, null, v29, v29, v6
	v_rcp_f32_e32 v44, v40
	v_div_scale_f32 v42, s0, v37, v23, v37
	s_delay_alu instid0(VALU_DEP_3) | instskip(NEXT) | instid1(TRANS32_DEP_2)
	v_fmac_f32_e32 v38, v19, v38
	v_fma_f32 v19, -v39, v30, 1.0
	v_pk_mul_f32 v[14:15], v[14:15], v[32:33]
	v_rcp_f32_e32 v33, v41
	v_div_scale_f32 v45, s1, v7, v29, v7
	s_delay_alu instid0(VALU_DEP_3) | instskip(SKIP_2) | instid1(TRANS32_DEP_1)
	v_dual_fmac_f32 v30, v19, v30 :: v_dual_mov_b32 v19, v10
	v_mul_f32_e32 v43, v26, v38
	v_fma_f32 v10, -v40, v44, 1.0
	v_fma_f32 v46, -v41, v33, 1.0
	s_delay_alu instid0(VALU_DEP_4) | instskip(SKIP_1) | instid1(VALU_DEP_4)
	v_pk_fma_f32 v[18:19], v[18:19], v[16:17], v[14:15]
	v_pk_fma_f32 v[14:15], v[2:3], v[16:17], v[14:15] neg_lo:[0,0,1] neg_hi:[0,0,1]
	v_dual_fmac_f32 v44, v10, v44 :: v_dual_fma_f32 v27, -v36, v43, v26
	s_delay_alu instid0(VALU_DEP_3) | instskip(NEXT) | instid1(VALU_DEP_2)
	v_dual_mul_f32 v32, v42, v30 :: v_dual_mov_b32 v15, v19
	v_dual_fmac_f32 v33, v46, v33 :: v_dual_fmac_f32 v43, v27, v38
	s_delay_alu instid0(VALU_DEP_2) | instskip(NEXT) | instid1(VALU_DEP_3)
	v_fma_f32 v27, -v39, v32, v42
	v_pk_mul_f32 v[8:9], v[8:9], v[14:15]
	s_delay_alu instid0(VALU_DEP_3) | instskip(NEXT) | instid1(VALU_DEP_3)
	v_dual_mul_f32 v14, v45, v44 :: v_dual_fma_f32 v10, -v36, v43, v26
	v_fmac_f32_e32 v32, v27, v30
	v_pk_mul_f32 v[26:27], v[28:29], v[22:23]
	s_delay_alu instid0(VALU_DEP_4) | instskip(NEXT) | instid1(VALU_DEP_4)
	v_div_scale_f32 v15, null, v23, v23, v9
	v_div_fmas_f32 v18, v10, v38, v43
	s_delay_alu instid0(VALU_DEP_4) | instskip(SKIP_3) | instid1(VALU_DEP_3)
	v_fma_f32 v10, -v39, v32, v42
	s_mov_b32 vcc_lo, s0
	v_div_scale_f32 v16, null, v27, v27, v26
	v_div_scale_f32 v17, s0, v6, v29, v6
	v_div_fmas_f32 v2, v10, v30, v32
	v_div_scale_f32 v28, null, v29, v29, v8
	v_fma_f32 v19, -v40, v14, v45
	s_mov_b32 vcc_lo, s1
	s_delay_alu instid0(VALU_DEP_3) | instskip(SKIP_2) | instid1(VALU_DEP_1)
	v_div_fixup_f32 v10, v2, v23, v37
	v_rcp_f32_e32 v2, v16
	v_rcp_f32_e32 v32, v28
	v_pk_add_f32 v[10:11], v[24:25], v[10:11]
	v_mul_f32_e32 v25, v17, v33
	v_rcp_f32_e32 v24, v15
	s_delay_alu instid0(TRANS32_DEP_3) | instskip(NEXT) | instid1(TRANS32_DEP_2)
	v_fma_f32 v22, -v16, v2, 1.0
	v_fma_f32 v35, -v28, v32, 1.0
	s_delay_alu instid0(VALU_DEP_2) | instskip(SKIP_2) | instid1(TRANS32_DEP_1)
	v_fmac_f32_e32 v2, v22, v2
	v_div_scale_f32 v22, s2, v26, v27, v26
	v_dual_fmac_f32 v14, v19, v44 :: v_dual_fma_f32 v19, -v41, v25, v17
	v_fma_f32 v30, -v15, v24, 1.0
	s_delay_alu instid0(VALU_DEP_3) | instskip(NEXT) | instid1(VALU_DEP_3)
	v_mul_f32_e32 v34, v22, v2
	v_fma_f32 v36, -v40, v14, v45
	s_delay_alu instid0(VALU_DEP_3) | instskip(NEXT) | instid1(VALU_DEP_3)
	v_dual_fmac_f32 v25, v19, v33 :: v_dual_fmac_f32 v24, v30, v24
	v_fma_f32 v19, -v16, v34, v22
	v_div_scale_f32 v30, s3, v9, v23, v9
	s_delay_alu instid0(VALU_DEP_3) | instskip(SKIP_1) | instid1(VALU_DEP_4)
	v_fma_f32 v17, -v41, v25, v17
	v_div_fmas_f32 v14, v36, v44, v14
	v_fmac_f32_e32 v34, v19, v2
	v_fmac_f32_e32 v32, v35, v32
	v_div_scale_f32 v35, s4, v8, v29, v8
	s_delay_alu instid0(VALU_DEP_3) | instskip(SKIP_1) | instid1(VALU_DEP_2)
	v_dual_mul_f32 v37, v30, v24 :: v_dual_fma_f32 v16, -v16, v34, v22
	s_mov_b32 vcc_lo, s0
	v_mul_f32_e32 v36, v35, v32
	v_div_fmas_f32 v17, v17, v33, v25
	s_mov_b32 vcc_lo, s2
	v_div_fixup_f32 v7, v14, v29, v7
	s_delay_alu instid0(VALU_DEP_3) | instskip(SKIP_4) | instid1(VALU_DEP_3)
	v_fma_f32 v22, -v28, v36, v35
	v_div_fmas_f32 v2, v16, v2, v34
	s_mov_b32 vcc_lo, s3
	v_div_fixup_f32 v6, v17, v29, v6
	v_div_fixup_f32 v16, v18, v29, v31
	;; [unrolled: 1-line block ×3, first 2 shown]
	s_delay_alu instid0(VALU_DEP_1) | instskip(SKIP_1) | instid1(VALU_DEP_2)
	v_dual_add_f32 v2, v12, v2 :: v_dual_fma_f32 v19, -v15, v37, v30
	v_fmac_f32_e32 v36, v22, v32
	v_fmac_f32_e32 v37, v19, v24
	s_delay_alu instid0(VALU_DEP_1) | instskip(NEXT) | instid1(VALU_DEP_1)
	v_dual_fma_f32 v14, -v15, v37, v30 :: v_dual_fma_f32 v15, -v28, v36, v35
	v_div_fmas_f32 v14, v14, v24, v37
	s_mov_b32 vcc_lo, s4
	s_delay_alu instid0(VALU_DEP_2) | instskip(SKIP_1) | instid1(VALU_DEP_3)
	v_div_fmas_f32 v12, v15, v32, v36
	v_cmp_lt_f32_e32 vcc_lo, v4, v21
	v_div_fixup_f32 v9, v14, v23, v9
	v_pk_add_f32 v[14:15], v[10:11], v[6:7]
	v_mov_b32_e32 v10, v29
	v_div_fixup_f32 v8, v12, v29, v8
	v_cndmask_b32_e32 v4, v4, v21, vcc_lo
	v_cmp_lt_f32_e32 vcc_lo, v1, v3
	v_dual_add_f32 v2, v9, v2 :: v_dual_mov_b32 v9, v14
	v_dual_mov_b32 v6, v29 :: v_dual_cndmask_b32 v11, v3, v1
	s_delay_alu instid0(VALU_DEP_2) | instskip(SKIP_1) | instid1(VALU_DEP_3)
	v_dual_add_f32 v5, v5, v16 :: v_dual_add_f32 v12, v8, v2
	v_dual_mov_b32 v8, v15 :: v_dual_mov_b32 v2, v29
	v_dual_mov_b32 v7, v11 :: v_dual_mov_b32 v3, v11
.LBB0_28:
	s_or_b32 exec_lo, exec_lo, s7
	s_wait_dscnt 0x1
	v_or_b32_e32 v16, 16, v20
	ds_bpermute_b32 v17, v16, v6
	ds_bpermute_b32 v6, v16, v9
	v_add_nc_u32_e32 v9, 4, v13
	ds_bpermute_b32 v18, v16, v7
	ds_bpermute_b32 v1, v16, v4
	;; [unrolled: 1-line block ×5, first 2 shown]
	v_cmp_gt_u32_e32 vcc_lo, s6, v9
	s_and_saveexec_b32 s6, vcc_lo
	s_cbranch_execz .LBB0_30
; %bb.29:
	v_dual_mov_b32 v20, v10 :: v_dual_mov_b32 v21, v15
	s_wait_dscnt 0x1
	v_mov_b32_e32 v16, v7
	v_dual_mul_f32 v22, v15, v17 :: v_dual_mov_b32 v29, v10
	v_dual_mul_f32 v32, v17, v17 :: v_dual_mov_b32 v33, v10
	v_pk_add_f32 v[26:27], v[14:15], v[6:7]
	s_delay_alu instid0(VALU_DEP_3) | instskip(SKIP_4) | instid1(VALU_DEP_3)
	v_pk_fma_f32 v[20:21], v[20:21], v[16:17], v[22:23] op_sel_hi:[1,1,0] neg_lo:[0,0,1] neg_hi:[0,0,1]
	v_dual_mov_b32 v16, v10 :: v_dual_mov_b32 v21, v17
	v_mov_b64_e32 v[34:35], 0x40c0000040800000
	s_wait_dscnt 0x0
	v_dual_add_f32 v36, v12, v8 :: v_dual_mov_b32 v27, v15
	v_pk_mul_f32 v[24:25], v[10:11], v[16:17] op_sel_hi:[0,1]
	v_sub_f32_e32 v22, v19, v5
	s_delay_alu instid0(VALU_DEP_2) | instskip(NEXT) | instid1(VALU_DEP_2)
	v_dual_sub_f32 v19, v2, v17 :: v_dual_mov_b32 v30, v25
	v_dual_mov_b32 v28, 0x40400000 :: v_dual_mul_f32 v23, v22, v22
	v_mov_b32_e32 v25, v7
	s_delay_alu instid0(VALU_DEP_3) | instskip(NEXT) | instid1(VALU_DEP_3)
	v_pk_fma_f32 v[30:31], v[10:11], v[16:17], v[30:31] op_sel_hi:[0,1,1] neg_lo:[0,0,1] neg_hi:[0,0,1]
	v_dual_mov_b32 v31, v17 :: v_dual_mul_f32 v9, v22, v23
	v_mov_b32_e32 v8, v17
	v_pk_mul_f32 v[28:29], v[28:29], v[22:23]
	s_delay_alu instid0(VALU_DEP_3) | instskip(NEXT) | instid1(VALU_DEP_4)
	v_pk_add_f32 v[12:13], v[32:33], v[30:31]
	v_mul_f32_e32 v16, v2, v9
	v_mul_f32_e32 v9, v22, v9
	;; [unrolled: 1-line block ×3, first 2 shown]
	v_pk_mul_f32 v[22:23], v[22:23], v[34:35]
	s_delay_alu instid0(VALU_DEP_4) | instskip(NEXT) | instid1(VALU_DEP_4)
	v_dual_mov_b32 v31, v13 :: v_dual_mul_f32 v16, v16, v17
	v_dual_mul_f32 v30, v2, v9 :: v_dual_mov_b32 v9, v13
	s_delay_alu instid0(VALU_DEP_4) | instskip(NEXT) | instid1(VALU_DEP_3)
	v_div_scale_f32 v2, null, v13, v13, v33
	v_dual_mul_f32 v19, v19, v16 :: v_dual_mov_b32 v16, v10
	s_delay_alu instid0(VALU_DEP_3) | instskip(NEXT) | instid1(VALU_DEP_3)
	v_pk_mul_f32 v[8:9], v[30:31], v[8:9]
	v_rcp_f32_e32 v37, v2
	v_dual_mov_b32 v30, v17 :: v_dual_mov_b32 v31, v32
	v_pk_mul_f32 v[20:21], v[28:29], v[20:21]
	s_delay_alu instid0(VALU_DEP_3) | instskip(SKIP_1) | instid1(TRANS32_DEP_1)
	v_div_scale_f32 v38, null, v9, v9, v19
	v_div_scale_f32 v28, vcc_lo, v33, v13, v33
	v_fma_f32 v17, -v2, v37, 1.0
	s_delay_alu instid0(VALU_DEP_3) | instskip(SKIP_2) | instid1(VALU_DEP_3)
	v_rcp_f32_e32 v32, v38
	v_div_scale_f32 v39, null, v13, v13, v21
	v_div_scale_f32 v41, s0, v19, v9, v19
	v_fmac_f32_e32 v37, v17, v37
	s_delay_alu instid0(VALU_DEP_3) | instskip(NEXT) | instid1(TRANS32_DEP_2)
	v_rcp_f32_e32 v43, v39
	v_fma_f32 v17, -v38, v32, 1.0
	v_pk_mul_f32 v[14:15], v[14:15], v[30:31]
	v_div_scale_f32 v40, null, v13, v13, v20
	v_div_scale_f32 v44, s1, v21, v13, v21
	s_delay_alu instid0(VALU_DEP_4) | instskip(NEXT) | instid1(VALU_DEP_3)
	v_dual_fmac_f32 v32, v17, v32 :: v_dual_mul_f32 v42, v28, v37
	v_rcp_f32_e32 v31, v40
	s_delay_alu instid0(VALU_DEP_1) | instskip(SKIP_2) | instid1(TRANS32_DEP_1)
	v_dual_mul_f32 v30, v41, v32 :: v_dual_fma_f32 v29, -v2, v42, v28
	v_mov_b32_e32 v17, v24
	v_fma_f32 v24, -v39, v43, 1.0
	v_fma_f32 v45, -v40, v31, 1.0
	s_delay_alu instid0(VALU_DEP_4) | instskip(NEXT) | instid1(VALU_DEP_3)
	v_dual_fmac_f32 v42, v29, v37 :: v_dual_fma_f32 v29, -v38, v30, v41
	v_fmac_f32_e32 v43, v24, v43
	v_pk_fma_f32 v[16:17], v[16:17], v[6:7], v[14:15]
	v_pk_fma_f32 v[6:7], v[10:11], v[6:7], v[14:15] neg_lo:[0,0,1] neg_hi:[0,0,1]
	s_delay_alu instid0(VALU_DEP_4) | instskip(SKIP_1) | instid1(VALU_DEP_4)
	v_dual_fma_f32 v2, -v2, v42, v28 :: v_dual_fmac_f32 v30, v29, v32
	v_pk_mul_f32 v[28:29], v[12:13], v[8:9]
	v_mov_b32_e32 v7, v17
	s_delay_alu instid0(VALU_DEP_3) | instskip(NEXT) | instid1(VALU_DEP_4)
	v_div_fmas_f32 v2, v2, v37, v42
	v_fma_f32 v8, -v38, v30, v41
	s_mov_b32 vcc_lo, s0
	v_div_scale_f32 v12, null, v29, v29, v28
	v_pk_mul_f32 v[6:7], v[22:23], v[6:7]
	s_delay_alu instid0(VALU_DEP_3)
	v_div_fmas_f32 v8, v8, v32, v30
	v_div_scale_f32 v15, s0, v20, v13, v20
	s_mov_b32 vcc_lo, s1
	v_div_scale_f32 v16, null, v9, v9, v7
	v_div_fixup_f32 v24, v8, v9, v19
	v_rcp_f32_e32 v8, v12
	v_div_fixup_f32 v2, v2, v13, v33
	s_delay_alu instid0(VALU_DEP_3) | instskip(NEXT) | instid1(VALU_DEP_2)
	v_rcp_f32_e32 v22, v16
	v_pk_add_f32 v[10:11], v[26:27], v[24:25]
	v_div_scale_f32 v24, null, v13, v13, v6
	s_delay_alu instid0(TRANS32_DEP_2) | instskip(SKIP_1) | instid1(TRANS32_DEP_1)
	v_fma_f32 v19, -v12, v8, 1.0
	v_mul_f32_e32 v14, v44, v43
	v_fma_f32 v25, -v16, v22, 1.0
	s_delay_alu instid0(VALU_DEP_4) | instskip(NEXT) | instid1(VALU_DEP_3)
	v_rcp_f32_e32 v26, v24
	v_dual_fmac_f32 v8, v19, v8 :: v_dual_fmac_f32 v31, v45, v31
	s_delay_alu instid0(VALU_DEP_3) | instskip(SKIP_1) | instid1(VALU_DEP_3)
	v_fma_f32 v17, -v39, v14, v44
	v_div_scale_f32 v19, s2, v28, v29, v28
	v_dual_fmac_f32 v22, v25, v22 :: v_dual_mul_f32 v23, v15, v31
	s_delay_alu instid0(VALU_DEP_2) | instskip(SKIP_1) | instid1(VALU_DEP_2)
	v_dual_fmac_f32 v14, v17, v43 :: v_dual_mul_f32 v27, v19, v8
	v_div_scale_f32 v25, s3, v7, v9, v7
	v_dual_fma_f32 v17, -v40, v23, v15 :: v_dual_fma_f32 v32, -v39, v14, v44
	v_fma_f32 v30, -v24, v26, 1.0
	s_delay_alu instid0(VALU_DEP_3) | instskip(NEXT) | instid1(VALU_DEP_3)
	v_mul_f32_e32 v34, v25, v22
	v_fmac_f32_e32 v23, v17, v31
	s_delay_alu instid0(VALU_DEP_3) | instskip(SKIP_1) | instid1(VALU_DEP_3)
	v_dual_fma_f32 v17, -v12, v27, v19 :: v_dual_fmac_f32 v26, v30, v26
	v_div_scale_f32 v30, s4, v6, v13, v6
	v_fma_f32 v15, -v40, v23, v15
	s_delay_alu instid0(VALU_DEP_3) | instskip(SKIP_2) | instid1(VALU_DEP_2)
	v_dual_fmac_f32 v27, v17, v8 :: v_dual_fma_f32 v17, -v16, v34, v25
	v_div_fmas_f32 v14, v32, v43, v14
	s_mov_b32 vcc_lo, s0
	v_dual_mul_f32 v32, v30, v26 :: v_dual_fma_f32 v12, -v12, v27, v19
	s_delay_alu instid0(VALU_DEP_3) | instskip(SKIP_2) | instid1(VALU_DEP_3)
	v_fmac_f32_e32 v34, v17, v22
	v_div_fmas_f32 v23, v15, v31, v23
	s_mov_b32 vcc_lo, s2
	v_fma_f32 v15, -v24, v32, v30
	v_div_fmas_f32 v8, v12, v8, v27
	s_mov_b32 vcc_lo, s3
	s_delay_alu instid0(VALU_DEP_1) | instskip(NEXT) | instid1(VALU_DEP_3)
	v_div_fixup_f32 v8, v8, v29, v28
	v_fmac_f32_e32 v32, v15, v26
	v_div_fixup_f32 v15, v14, v13, v21
	v_div_fixup_f32 v14, v23, v13, v20
	s_delay_alu instid0(VALU_DEP_4) | instskip(SKIP_2) | instid1(VALU_DEP_4)
	v_add_f32_e32 v8, v36, v8
	v_fma_f32 v12, -v16, v34, v25
	v_fma_f32 v16, -v24, v32, v30
	v_pk_add_f32 v[14:15], v[10:11], v[14:15]
	s_delay_alu instid0(VALU_DEP_3) | instskip(SKIP_1) | instid1(VALU_DEP_3)
	v_div_fmas_f32 v12, v12, v22, v34
	s_mov_b32 vcc_lo, s4
	v_div_fmas_f32 v16, v16, v26, v32
	v_cmp_gt_f32_e32 vcc_lo, v3, v18
	s_delay_alu instid0(VALU_DEP_3) | instskip(NEXT) | instid1(VALU_DEP_3)
	v_div_fixup_f32 v7, v12, v9, v7
	v_div_fixup_f32 v6, v16, v13, v6
	v_cndmask_b32_e32 v3, v3, v18, vcc_lo
	s_delay_alu instid0(VALU_DEP_3) | instskip(SKIP_2) | instid1(VALU_DEP_3)
	v_add_f32_e32 v7, v7, v8
	v_cmp_lt_f32_e32 vcc_lo, v4, v1
	v_add_f32_e32 v5, v5, v2
	v_dual_mov_b32 v2, v13 :: v_dual_add_f32 v12, v6, v7
	v_cndmask_b32_e32 v4, v4, v1, vcc_lo
.LBB0_30:
	s_or_b32 exec_lo, exec_lo, s6
.LBB0_31:
	s_delay_alu instid0(SALU_CYCLE_1)
	s_or_b32 exec_lo, exec_lo, s5
.LBB0_32:
	s_delay_alu instid0(SALU_CYCLE_1)
	s_mov_b32 s0, exec_lo
	v_cmpx_eq_u32_e32 0, v0
	s_cbranch_execz .LBB0_37
; %bb.33:
	s_cmp_lg_u64 s[8:9], 0
	s_cbranch_scc0 .LBB0_38
; %bb.34:
	s_wait_dscnt 0x0
	v_dual_mov_b32 v9, v14 :: v_dual_mov_b32 v8, v15
	v_mov_b64_e32 v[6:7], v[4:5]
	v_mov_b32_e32 v10, v12
	v_mov_b64_e32 v[4:5], v[2:3]
	s_cbranch_execnz .LBB0_36
.LBB0_35:
	v_mov_b64_e32 v[4:5], s[16:17]
	s_wait_dscnt 0x0
	v_dual_mov_b32 v8, s20 :: v_dual_mov_b32 v9, s21
.LBB0_36:
	s_mul_u64 s[0:1], s[14:15], s[12:13]
	v_mov_b32_e32 v0, 0
	s_mul_u64 s[0:1], s[0:1], 28
	s_mul_u64 s[2:3], s[24:25], 28
	s_add_nc_u64 s[0:1], s[10:11], s[0:1]
	s_delay_alu instid0(SALU_CYCLE_1)
	s_add_nc_u64 s[0:1], s[0:1], s[2:3]
	global_store_b128 v0, v[4:7], s[0:1]
	s_wait_dscnt 0x0
	global_store_b96 v0, v[8:10], s[0:1] offset:16
.LBB0_37:
	s_endpgm
.LBB0_38:
	s_wait_dscnt 0x1
	v_mov_b64_e32 v[6:7], s[18:19]
	v_mov_b32_e32 v10, s22
	s_branch .LBB0_35
	.section	.rodata,"a",@progbits
	.p2align	6, 0x0
	.amdhsa_kernel _ZN7rocprim17ROCPRIM_400000_NS6detail17trampoline_kernelINS0_14default_configENS1_22reduce_config_selectorI18summary_stats_dataIfEEEZNS1_11reduce_implILb1ES3_PS6_S9_S6_23summary_stats_binary_opIfEEE10hipError_tPvRmT1_T2_T3_mT4_P12ihipStream_tbEUlT_E0_NS1_11comp_targetILNS1_3genE0ELNS1_11target_archE4294967295ELNS1_3gpuE0ELNS1_3repE0EEENS1_30default_config_static_selectorELNS0_4arch9wavefront6targetE0EEEvSF_
		.amdhsa_group_segment_fixed_size 448
		.amdhsa_private_segment_fixed_size 0
		.amdhsa_kernarg_size 80
		.amdhsa_user_sgpr_count 2
		.amdhsa_user_sgpr_dispatch_ptr 0
		.amdhsa_user_sgpr_queue_ptr 0
		.amdhsa_user_sgpr_kernarg_segment_ptr 1
		.amdhsa_user_sgpr_dispatch_id 0
		.amdhsa_user_sgpr_kernarg_preload_length 0
		.amdhsa_user_sgpr_kernarg_preload_offset 0
		.amdhsa_user_sgpr_private_segment_size 0
		.amdhsa_wavefront_size32 1
		.amdhsa_uses_dynamic_stack 0
		.amdhsa_enable_private_segment 0
		.amdhsa_system_sgpr_workgroup_id_x 1
		.amdhsa_system_sgpr_workgroup_id_y 0
		.amdhsa_system_sgpr_workgroup_id_z 0
		.amdhsa_system_sgpr_workgroup_info 0
		.amdhsa_system_vgpr_workitem_id 0
		.amdhsa_next_free_vgpr 60
		.amdhsa_next_free_sgpr 28
		.amdhsa_named_barrier_count 0
		.amdhsa_reserve_vcc 1
		.amdhsa_float_round_mode_32 0
		.amdhsa_float_round_mode_16_64 0
		.amdhsa_float_denorm_mode_32 3
		.amdhsa_float_denorm_mode_16_64 3
		.amdhsa_fp16_overflow 0
		.amdhsa_memory_ordered 1
		.amdhsa_forward_progress 1
		.amdhsa_inst_pref_size 149
		.amdhsa_round_robin_scheduling 0
		.amdhsa_exception_fp_ieee_invalid_op 0
		.amdhsa_exception_fp_denorm_src 0
		.amdhsa_exception_fp_ieee_div_zero 0
		.amdhsa_exception_fp_ieee_overflow 0
		.amdhsa_exception_fp_ieee_underflow 0
		.amdhsa_exception_fp_ieee_inexact 0
		.amdhsa_exception_int_div_zero 0
	.end_amdhsa_kernel
	.section	.text._ZN7rocprim17ROCPRIM_400000_NS6detail17trampoline_kernelINS0_14default_configENS1_22reduce_config_selectorI18summary_stats_dataIfEEEZNS1_11reduce_implILb1ES3_PS6_S9_S6_23summary_stats_binary_opIfEEE10hipError_tPvRmT1_T2_T3_mT4_P12ihipStream_tbEUlT_E0_NS1_11comp_targetILNS1_3genE0ELNS1_11target_archE4294967295ELNS1_3gpuE0ELNS1_3repE0EEENS1_30default_config_static_selectorELNS0_4arch9wavefront6targetE0EEEvSF_,"axG",@progbits,_ZN7rocprim17ROCPRIM_400000_NS6detail17trampoline_kernelINS0_14default_configENS1_22reduce_config_selectorI18summary_stats_dataIfEEEZNS1_11reduce_implILb1ES3_PS6_S9_S6_23summary_stats_binary_opIfEEE10hipError_tPvRmT1_T2_T3_mT4_P12ihipStream_tbEUlT_E0_NS1_11comp_targetILNS1_3genE0ELNS1_11target_archE4294967295ELNS1_3gpuE0ELNS1_3repE0EEENS1_30default_config_static_selectorELNS0_4arch9wavefront6targetE0EEEvSF_,comdat
.Lfunc_end0:
	.size	_ZN7rocprim17ROCPRIM_400000_NS6detail17trampoline_kernelINS0_14default_configENS1_22reduce_config_selectorI18summary_stats_dataIfEEEZNS1_11reduce_implILb1ES3_PS6_S9_S6_23summary_stats_binary_opIfEEE10hipError_tPvRmT1_T2_T3_mT4_P12ihipStream_tbEUlT_E0_NS1_11comp_targetILNS1_3genE0ELNS1_11target_archE4294967295ELNS1_3gpuE0ELNS1_3repE0EEENS1_30default_config_static_selectorELNS0_4arch9wavefront6targetE0EEEvSF_, .Lfunc_end0-_ZN7rocprim17ROCPRIM_400000_NS6detail17trampoline_kernelINS0_14default_configENS1_22reduce_config_selectorI18summary_stats_dataIfEEEZNS1_11reduce_implILb1ES3_PS6_S9_S6_23summary_stats_binary_opIfEEE10hipError_tPvRmT1_T2_T3_mT4_P12ihipStream_tbEUlT_E0_NS1_11comp_targetILNS1_3genE0ELNS1_11target_archE4294967295ELNS1_3gpuE0ELNS1_3repE0EEENS1_30default_config_static_selectorELNS0_4arch9wavefront6targetE0EEEvSF_
                                        ; -- End function
	.set _ZN7rocprim17ROCPRIM_400000_NS6detail17trampoline_kernelINS0_14default_configENS1_22reduce_config_selectorI18summary_stats_dataIfEEEZNS1_11reduce_implILb1ES3_PS6_S9_S6_23summary_stats_binary_opIfEEE10hipError_tPvRmT1_T2_T3_mT4_P12ihipStream_tbEUlT_E0_NS1_11comp_targetILNS1_3genE0ELNS1_11target_archE4294967295ELNS1_3gpuE0ELNS1_3repE0EEENS1_30default_config_static_selectorELNS0_4arch9wavefront6targetE0EEEvSF_.num_vgpr, 60
	.set _ZN7rocprim17ROCPRIM_400000_NS6detail17trampoline_kernelINS0_14default_configENS1_22reduce_config_selectorI18summary_stats_dataIfEEEZNS1_11reduce_implILb1ES3_PS6_S9_S6_23summary_stats_binary_opIfEEE10hipError_tPvRmT1_T2_T3_mT4_P12ihipStream_tbEUlT_E0_NS1_11comp_targetILNS1_3genE0ELNS1_11target_archE4294967295ELNS1_3gpuE0ELNS1_3repE0EEENS1_30default_config_static_selectorELNS0_4arch9wavefront6targetE0EEEvSF_.num_agpr, 0
	.set _ZN7rocprim17ROCPRIM_400000_NS6detail17trampoline_kernelINS0_14default_configENS1_22reduce_config_selectorI18summary_stats_dataIfEEEZNS1_11reduce_implILb1ES3_PS6_S9_S6_23summary_stats_binary_opIfEEE10hipError_tPvRmT1_T2_T3_mT4_P12ihipStream_tbEUlT_E0_NS1_11comp_targetILNS1_3genE0ELNS1_11target_archE4294967295ELNS1_3gpuE0ELNS1_3repE0EEENS1_30default_config_static_selectorELNS0_4arch9wavefront6targetE0EEEvSF_.numbered_sgpr, 28
	.set _ZN7rocprim17ROCPRIM_400000_NS6detail17trampoline_kernelINS0_14default_configENS1_22reduce_config_selectorI18summary_stats_dataIfEEEZNS1_11reduce_implILb1ES3_PS6_S9_S6_23summary_stats_binary_opIfEEE10hipError_tPvRmT1_T2_T3_mT4_P12ihipStream_tbEUlT_E0_NS1_11comp_targetILNS1_3genE0ELNS1_11target_archE4294967295ELNS1_3gpuE0ELNS1_3repE0EEENS1_30default_config_static_selectorELNS0_4arch9wavefront6targetE0EEEvSF_.num_named_barrier, 0
	.set _ZN7rocprim17ROCPRIM_400000_NS6detail17trampoline_kernelINS0_14default_configENS1_22reduce_config_selectorI18summary_stats_dataIfEEEZNS1_11reduce_implILb1ES3_PS6_S9_S6_23summary_stats_binary_opIfEEE10hipError_tPvRmT1_T2_T3_mT4_P12ihipStream_tbEUlT_E0_NS1_11comp_targetILNS1_3genE0ELNS1_11target_archE4294967295ELNS1_3gpuE0ELNS1_3repE0EEENS1_30default_config_static_selectorELNS0_4arch9wavefront6targetE0EEEvSF_.private_seg_size, 0
	.set _ZN7rocprim17ROCPRIM_400000_NS6detail17trampoline_kernelINS0_14default_configENS1_22reduce_config_selectorI18summary_stats_dataIfEEEZNS1_11reduce_implILb1ES3_PS6_S9_S6_23summary_stats_binary_opIfEEE10hipError_tPvRmT1_T2_T3_mT4_P12ihipStream_tbEUlT_E0_NS1_11comp_targetILNS1_3genE0ELNS1_11target_archE4294967295ELNS1_3gpuE0ELNS1_3repE0EEENS1_30default_config_static_selectorELNS0_4arch9wavefront6targetE0EEEvSF_.uses_vcc, 1
	.set _ZN7rocprim17ROCPRIM_400000_NS6detail17trampoline_kernelINS0_14default_configENS1_22reduce_config_selectorI18summary_stats_dataIfEEEZNS1_11reduce_implILb1ES3_PS6_S9_S6_23summary_stats_binary_opIfEEE10hipError_tPvRmT1_T2_T3_mT4_P12ihipStream_tbEUlT_E0_NS1_11comp_targetILNS1_3genE0ELNS1_11target_archE4294967295ELNS1_3gpuE0ELNS1_3repE0EEENS1_30default_config_static_selectorELNS0_4arch9wavefront6targetE0EEEvSF_.uses_flat_scratch, 0
	.set _ZN7rocprim17ROCPRIM_400000_NS6detail17trampoline_kernelINS0_14default_configENS1_22reduce_config_selectorI18summary_stats_dataIfEEEZNS1_11reduce_implILb1ES3_PS6_S9_S6_23summary_stats_binary_opIfEEE10hipError_tPvRmT1_T2_T3_mT4_P12ihipStream_tbEUlT_E0_NS1_11comp_targetILNS1_3genE0ELNS1_11target_archE4294967295ELNS1_3gpuE0ELNS1_3repE0EEENS1_30default_config_static_selectorELNS0_4arch9wavefront6targetE0EEEvSF_.has_dyn_sized_stack, 0
	.set _ZN7rocprim17ROCPRIM_400000_NS6detail17trampoline_kernelINS0_14default_configENS1_22reduce_config_selectorI18summary_stats_dataIfEEEZNS1_11reduce_implILb1ES3_PS6_S9_S6_23summary_stats_binary_opIfEEE10hipError_tPvRmT1_T2_T3_mT4_P12ihipStream_tbEUlT_E0_NS1_11comp_targetILNS1_3genE0ELNS1_11target_archE4294967295ELNS1_3gpuE0ELNS1_3repE0EEENS1_30default_config_static_selectorELNS0_4arch9wavefront6targetE0EEEvSF_.has_recursion, 0
	.set _ZN7rocprim17ROCPRIM_400000_NS6detail17trampoline_kernelINS0_14default_configENS1_22reduce_config_selectorI18summary_stats_dataIfEEEZNS1_11reduce_implILb1ES3_PS6_S9_S6_23summary_stats_binary_opIfEEE10hipError_tPvRmT1_T2_T3_mT4_P12ihipStream_tbEUlT_E0_NS1_11comp_targetILNS1_3genE0ELNS1_11target_archE4294967295ELNS1_3gpuE0ELNS1_3repE0EEENS1_30default_config_static_selectorELNS0_4arch9wavefront6targetE0EEEvSF_.has_indirect_call, 0
	.section	.AMDGPU.csdata,"",@progbits
; Kernel info:
; codeLenInByte = 19040
; TotalNumSgprs: 30
; NumVgprs: 60
; ScratchSize: 0
; MemoryBound: 1
; FloatMode: 240
; IeeeMode: 1
; LDSByteSize: 448 bytes/workgroup (compile time only)
; SGPRBlocks: 0
; VGPRBlocks: 3
; NumSGPRsForWavesPerEU: 30
; NumVGPRsForWavesPerEU: 60
; NamedBarCnt: 0
; Occupancy: 16
; WaveLimiterHint : 1
; COMPUTE_PGM_RSRC2:SCRATCH_EN: 0
; COMPUTE_PGM_RSRC2:USER_SGPR: 2
; COMPUTE_PGM_RSRC2:TRAP_HANDLER: 0
; COMPUTE_PGM_RSRC2:TGID_X_EN: 1
; COMPUTE_PGM_RSRC2:TGID_Y_EN: 0
; COMPUTE_PGM_RSRC2:TGID_Z_EN: 0
; COMPUTE_PGM_RSRC2:TIDIG_COMP_CNT: 0
	.section	.text._ZN7rocprim17ROCPRIM_400000_NS6detail17trampoline_kernelINS0_14default_configENS1_22reduce_config_selectorI18summary_stats_dataIfEEEZNS1_11reduce_implILb1ES3_PS6_S9_S6_23summary_stats_binary_opIfEEE10hipError_tPvRmT1_T2_T3_mT4_P12ihipStream_tbEUlT_E0_NS1_11comp_targetILNS1_3genE5ELNS1_11target_archE942ELNS1_3gpuE9ELNS1_3repE0EEENS1_30default_config_static_selectorELNS0_4arch9wavefront6targetE0EEEvSF_,"axG",@progbits,_ZN7rocprim17ROCPRIM_400000_NS6detail17trampoline_kernelINS0_14default_configENS1_22reduce_config_selectorI18summary_stats_dataIfEEEZNS1_11reduce_implILb1ES3_PS6_S9_S6_23summary_stats_binary_opIfEEE10hipError_tPvRmT1_T2_T3_mT4_P12ihipStream_tbEUlT_E0_NS1_11comp_targetILNS1_3genE5ELNS1_11target_archE942ELNS1_3gpuE9ELNS1_3repE0EEENS1_30default_config_static_selectorELNS0_4arch9wavefront6targetE0EEEvSF_,comdat
	.protected	_ZN7rocprim17ROCPRIM_400000_NS6detail17trampoline_kernelINS0_14default_configENS1_22reduce_config_selectorI18summary_stats_dataIfEEEZNS1_11reduce_implILb1ES3_PS6_S9_S6_23summary_stats_binary_opIfEEE10hipError_tPvRmT1_T2_T3_mT4_P12ihipStream_tbEUlT_E0_NS1_11comp_targetILNS1_3genE5ELNS1_11target_archE942ELNS1_3gpuE9ELNS1_3repE0EEENS1_30default_config_static_selectorELNS0_4arch9wavefront6targetE0EEEvSF_ ; -- Begin function _ZN7rocprim17ROCPRIM_400000_NS6detail17trampoline_kernelINS0_14default_configENS1_22reduce_config_selectorI18summary_stats_dataIfEEEZNS1_11reduce_implILb1ES3_PS6_S9_S6_23summary_stats_binary_opIfEEE10hipError_tPvRmT1_T2_T3_mT4_P12ihipStream_tbEUlT_E0_NS1_11comp_targetILNS1_3genE5ELNS1_11target_archE942ELNS1_3gpuE9ELNS1_3repE0EEENS1_30default_config_static_selectorELNS0_4arch9wavefront6targetE0EEEvSF_
	.globl	_ZN7rocprim17ROCPRIM_400000_NS6detail17trampoline_kernelINS0_14default_configENS1_22reduce_config_selectorI18summary_stats_dataIfEEEZNS1_11reduce_implILb1ES3_PS6_S9_S6_23summary_stats_binary_opIfEEE10hipError_tPvRmT1_T2_T3_mT4_P12ihipStream_tbEUlT_E0_NS1_11comp_targetILNS1_3genE5ELNS1_11target_archE942ELNS1_3gpuE9ELNS1_3repE0EEENS1_30default_config_static_selectorELNS0_4arch9wavefront6targetE0EEEvSF_
	.p2align	8
	.type	_ZN7rocprim17ROCPRIM_400000_NS6detail17trampoline_kernelINS0_14default_configENS1_22reduce_config_selectorI18summary_stats_dataIfEEEZNS1_11reduce_implILb1ES3_PS6_S9_S6_23summary_stats_binary_opIfEEE10hipError_tPvRmT1_T2_T3_mT4_P12ihipStream_tbEUlT_E0_NS1_11comp_targetILNS1_3genE5ELNS1_11target_archE942ELNS1_3gpuE9ELNS1_3repE0EEENS1_30default_config_static_selectorELNS0_4arch9wavefront6targetE0EEEvSF_,@function
_ZN7rocprim17ROCPRIM_400000_NS6detail17trampoline_kernelINS0_14default_configENS1_22reduce_config_selectorI18summary_stats_dataIfEEEZNS1_11reduce_implILb1ES3_PS6_S9_S6_23summary_stats_binary_opIfEEE10hipError_tPvRmT1_T2_T3_mT4_P12ihipStream_tbEUlT_E0_NS1_11comp_targetILNS1_3genE5ELNS1_11target_archE942ELNS1_3gpuE9ELNS1_3repE0EEENS1_30default_config_static_selectorELNS0_4arch9wavefront6targetE0EEEvSF_: ; @_ZN7rocprim17ROCPRIM_400000_NS6detail17trampoline_kernelINS0_14default_configENS1_22reduce_config_selectorI18summary_stats_dataIfEEEZNS1_11reduce_implILb1ES3_PS6_S9_S6_23summary_stats_binary_opIfEEE10hipError_tPvRmT1_T2_T3_mT4_P12ihipStream_tbEUlT_E0_NS1_11comp_targetILNS1_3genE5ELNS1_11target_archE942ELNS1_3gpuE9ELNS1_3repE0EEENS1_30default_config_static_selectorELNS0_4arch9wavefront6targetE0EEEvSF_
; %bb.0:
	.section	.rodata,"a",@progbits
	.p2align	6, 0x0
	.amdhsa_kernel _ZN7rocprim17ROCPRIM_400000_NS6detail17trampoline_kernelINS0_14default_configENS1_22reduce_config_selectorI18summary_stats_dataIfEEEZNS1_11reduce_implILb1ES3_PS6_S9_S6_23summary_stats_binary_opIfEEE10hipError_tPvRmT1_T2_T3_mT4_P12ihipStream_tbEUlT_E0_NS1_11comp_targetILNS1_3genE5ELNS1_11target_archE942ELNS1_3gpuE9ELNS1_3repE0EEENS1_30default_config_static_selectorELNS0_4arch9wavefront6targetE0EEEvSF_
		.amdhsa_group_segment_fixed_size 0
		.amdhsa_private_segment_fixed_size 0
		.amdhsa_kernarg_size 80
		.amdhsa_user_sgpr_count 2
		.amdhsa_user_sgpr_dispatch_ptr 0
		.amdhsa_user_sgpr_queue_ptr 0
		.amdhsa_user_sgpr_kernarg_segment_ptr 1
		.amdhsa_user_sgpr_dispatch_id 0
		.amdhsa_user_sgpr_kernarg_preload_length 0
		.amdhsa_user_sgpr_kernarg_preload_offset 0
		.amdhsa_user_sgpr_private_segment_size 0
		.amdhsa_wavefront_size32 1
		.amdhsa_uses_dynamic_stack 0
		.amdhsa_enable_private_segment 0
		.amdhsa_system_sgpr_workgroup_id_x 1
		.amdhsa_system_sgpr_workgroup_id_y 0
		.amdhsa_system_sgpr_workgroup_id_z 0
		.amdhsa_system_sgpr_workgroup_info 0
		.amdhsa_system_vgpr_workitem_id 0
		.amdhsa_next_free_vgpr 1
		.amdhsa_next_free_sgpr 1
		.amdhsa_named_barrier_count 0
		.amdhsa_reserve_vcc 0
		.amdhsa_float_round_mode_32 0
		.amdhsa_float_round_mode_16_64 0
		.amdhsa_float_denorm_mode_32 3
		.amdhsa_float_denorm_mode_16_64 3
		.amdhsa_fp16_overflow 0
		.amdhsa_memory_ordered 1
		.amdhsa_forward_progress 1
		.amdhsa_inst_pref_size 0
		.amdhsa_round_robin_scheduling 0
		.amdhsa_exception_fp_ieee_invalid_op 0
		.amdhsa_exception_fp_denorm_src 0
		.amdhsa_exception_fp_ieee_div_zero 0
		.amdhsa_exception_fp_ieee_overflow 0
		.amdhsa_exception_fp_ieee_underflow 0
		.amdhsa_exception_fp_ieee_inexact 0
		.amdhsa_exception_int_div_zero 0
	.end_amdhsa_kernel
	.section	.text._ZN7rocprim17ROCPRIM_400000_NS6detail17trampoline_kernelINS0_14default_configENS1_22reduce_config_selectorI18summary_stats_dataIfEEEZNS1_11reduce_implILb1ES3_PS6_S9_S6_23summary_stats_binary_opIfEEE10hipError_tPvRmT1_T2_T3_mT4_P12ihipStream_tbEUlT_E0_NS1_11comp_targetILNS1_3genE5ELNS1_11target_archE942ELNS1_3gpuE9ELNS1_3repE0EEENS1_30default_config_static_selectorELNS0_4arch9wavefront6targetE0EEEvSF_,"axG",@progbits,_ZN7rocprim17ROCPRIM_400000_NS6detail17trampoline_kernelINS0_14default_configENS1_22reduce_config_selectorI18summary_stats_dataIfEEEZNS1_11reduce_implILb1ES3_PS6_S9_S6_23summary_stats_binary_opIfEEE10hipError_tPvRmT1_T2_T3_mT4_P12ihipStream_tbEUlT_E0_NS1_11comp_targetILNS1_3genE5ELNS1_11target_archE942ELNS1_3gpuE9ELNS1_3repE0EEENS1_30default_config_static_selectorELNS0_4arch9wavefront6targetE0EEEvSF_,comdat
.Lfunc_end1:
	.size	_ZN7rocprim17ROCPRIM_400000_NS6detail17trampoline_kernelINS0_14default_configENS1_22reduce_config_selectorI18summary_stats_dataIfEEEZNS1_11reduce_implILb1ES3_PS6_S9_S6_23summary_stats_binary_opIfEEE10hipError_tPvRmT1_T2_T3_mT4_P12ihipStream_tbEUlT_E0_NS1_11comp_targetILNS1_3genE5ELNS1_11target_archE942ELNS1_3gpuE9ELNS1_3repE0EEENS1_30default_config_static_selectorELNS0_4arch9wavefront6targetE0EEEvSF_, .Lfunc_end1-_ZN7rocprim17ROCPRIM_400000_NS6detail17trampoline_kernelINS0_14default_configENS1_22reduce_config_selectorI18summary_stats_dataIfEEEZNS1_11reduce_implILb1ES3_PS6_S9_S6_23summary_stats_binary_opIfEEE10hipError_tPvRmT1_T2_T3_mT4_P12ihipStream_tbEUlT_E0_NS1_11comp_targetILNS1_3genE5ELNS1_11target_archE942ELNS1_3gpuE9ELNS1_3repE0EEENS1_30default_config_static_selectorELNS0_4arch9wavefront6targetE0EEEvSF_
                                        ; -- End function
	.set _ZN7rocprim17ROCPRIM_400000_NS6detail17trampoline_kernelINS0_14default_configENS1_22reduce_config_selectorI18summary_stats_dataIfEEEZNS1_11reduce_implILb1ES3_PS6_S9_S6_23summary_stats_binary_opIfEEE10hipError_tPvRmT1_T2_T3_mT4_P12ihipStream_tbEUlT_E0_NS1_11comp_targetILNS1_3genE5ELNS1_11target_archE942ELNS1_3gpuE9ELNS1_3repE0EEENS1_30default_config_static_selectorELNS0_4arch9wavefront6targetE0EEEvSF_.num_vgpr, 0
	.set _ZN7rocprim17ROCPRIM_400000_NS6detail17trampoline_kernelINS0_14default_configENS1_22reduce_config_selectorI18summary_stats_dataIfEEEZNS1_11reduce_implILb1ES3_PS6_S9_S6_23summary_stats_binary_opIfEEE10hipError_tPvRmT1_T2_T3_mT4_P12ihipStream_tbEUlT_E0_NS1_11comp_targetILNS1_3genE5ELNS1_11target_archE942ELNS1_3gpuE9ELNS1_3repE0EEENS1_30default_config_static_selectorELNS0_4arch9wavefront6targetE0EEEvSF_.num_agpr, 0
	.set _ZN7rocprim17ROCPRIM_400000_NS6detail17trampoline_kernelINS0_14default_configENS1_22reduce_config_selectorI18summary_stats_dataIfEEEZNS1_11reduce_implILb1ES3_PS6_S9_S6_23summary_stats_binary_opIfEEE10hipError_tPvRmT1_T2_T3_mT4_P12ihipStream_tbEUlT_E0_NS1_11comp_targetILNS1_3genE5ELNS1_11target_archE942ELNS1_3gpuE9ELNS1_3repE0EEENS1_30default_config_static_selectorELNS0_4arch9wavefront6targetE0EEEvSF_.numbered_sgpr, 0
	.set _ZN7rocprim17ROCPRIM_400000_NS6detail17trampoline_kernelINS0_14default_configENS1_22reduce_config_selectorI18summary_stats_dataIfEEEZNS1_11reduce_implILb1ES3_PS6_S9_S6_23summary_stats_binary_opIfEEE10hipError_tPvRmT1_T2_T3_mT4_P12ihipStream_tbEUlT_E0_NS1_11comp_targetILNS1_3genE5ELNS1_11target_archE942ELNS1_3gpuE9ELNS1_3repE0EEENS1_30default_config_static_selectorELNS0_4arch9wavefront6targetE0EEEvSF_.num_named_barrier, 0
	.set _ZN7rocprim17ROCPRIM_400000_NS6detail17trampoline_kernelINS0_14default_configENS1_22reduce_config_selectorI18summary_stats_dataIfEEEZNS1_11reduce_implILb1ES3_PS6_S9_S6_23summary_stats_binary_opIfEEE10hipError_tPvRmT1_T2_T3_mT4_P12ihipStream_tbEUlT_E0_NS1_11comp_targetILNS1_3genE5ELNS1_11target_archE942ELNS1_3gpuE9ELNS1_3repE0EEENS1_30default_config_static_selectorELNS0_4arch9wavefront6targetE0EEEvSF_.private_seg_size, 0
	.set _ZN7rocprim17ROCPRIM_400000_NS6detail17trampoline_kernelINS0_14default_configENS1_22reduce_config_selectorI18summary_stats_dataIfEEEZNS1_11reduce_implILb1ES3_PS6_S9_S6_23summary_stats_binary_opIfEEE10hipError_tPvRmT1_T2_T3_mT4_P12ihipStream_tbEUlT_E0_NS1_11comp_targetILNS1_3genE5ELNS1_11target_archE942ELNS1_3gpuE9ELNS1_3repE0EEENS1_30default_config_static_selectorELNS0_4arch9wavefront6targetE0EEEvSF_.uses_vcc, 0
	.set _ZN7rocprim17ROCPRIM_400000_NS6detail17trampoline_kernelINS0_14default_configENS1_22reduce_config_selectorI18summary_stats_dataIfEEEZNS1_11reduce_implILb1ES3_PS6_S9_S6_23summary_stats_binary_opIfEEE10hipError_tPvRmT1_T2_T3_mT4_P12ihipStream_tbEUlT_E0_NS1_11comp_targetILNS1_3genE5ELNS1_11target_archE942ELNS1_3gpuE9ELNS1_3repE0EEENS1_30default_config_static_selectorELNS0_4arch9wavefront6targetE0EEEvSF_.uses_flat_scratch, 0
	.set _ZN7rocprim17ROCPRIM_400000_NS6detail17trampoline_kernelINS0_14default_configENS1_22reduce_config_selectorI18summary_stats_dataIfEEEZNS1_11reduce_implILb1ES3_PS6_S9_S6_23summary_stats_binary_opIfEEE10hipError_tPvRmT1_T2_T3_mT4_P12ihipStream_tbEUlT_E0_NS1_11comp_targetILNS1_3genE5ELNS1_11target_archE942ELNS1_3gpuE9ELNS1_3repE0EEENS1_30default_config_static_selectorELNS0_4arch9wavefront6targetE0EEEvSF_.has_dyn_sized_stack, 0
	.set _ZN7rocprim17ROCPRIM_400000_NS6detail17trampoline_kernelINS0_14default_configENS1_22reduce_config_selectorI18summary_stats_dataIfEEEZNS1_11reduce_implILb1ES3_PS6_S9_S6_23summary_stats_binary_opIfEEE10hipError_tPvRmT1_T2_T3_mT4_P12ihipStream_tbEUlT_E0_NS1_11comp_targetILNS1_3genE5ELNS1_11target_archE942ELNS1_3gpuE9ELNS1_3repE0EEENS1_30default_config_static_selectorELNS0_4arch9wavefront6targetE0EEEvSF_.has_recursion, 0
	.set _ZN7rocprim17ROCPRIM_400000_NS6detail17trampoline_kernelINS0_14default_configENS1_22reduce_config_selectorI18summary_stats_dataIfEEEZNS1_11reduce_implILb1ES3_PS6_S9_S6_23summary_stats_binary_opIfEEE10hipError_tPvRmT1_T2_T3_mT4_P12ihipStream_tbEUlT_E0_NS1_11comp_targetILNS1_3genE5ELNS1_11target_archE942ELNS1_3gpuE9ELNS1_3repE0EEENS1_30default_config_static_selectorELNS0_4arch9wavefront6targetE0EEEvSF_.has_indirect_call, 0
	.section	.AMDGPU.csdata,"",@progbits
; Kernel info:
; codeLenInByte = 0
; TotalNumSgprs: 0
; NumVgprs: 0
; ScratchSize: 0
; MemoryBound: 0
; FloatMode: 240
; IeeeMode: 1
; LDSByteSize: 0 bytes/workgroup (compile time only)
; SGPRBlocks: 0
; VGPRBlocks: 0
; NumSGPRsForWavesPerEU: 1
; NumVGPRsForWavesPerEU: 1
; NamedBarCnt: 0
; Occupancy: 16
; WaveLimiterHint : 0
; COMPUTE_PGM_RSRC2:SCRATCH_EN: 0
; COMPUTE_PGM_RSRC2:USER_SGPR: 2
; COMPUTE_PGM_RSRC2:TRAP_HANDLER: 0
; COMPUTE_PGM_RSRC2:TGID_X_EN: 1
; COMPUTE_PGM_RSRC2:TGID_Y_EN: 0
; COMPUTE_PGM_RSRC2:TGID_Z_EN: 0
; COMPUTE_PGM_RSRC2:TIDIG_COMP_CNT: 0
	.section	.text._ZN7rocprim17ROCPRIM_400000_NS6detail17trampoline_kernelINS0_14default_configENS1_22reduce_config_selectorI18summary_stats_dataIfEEEZNS1_11reduce_implILb1ES3_PS6_S9_S6_23summary_stats_binary_opIfEEE10hipError_tPvRmT1_T2_T3_mT4_P12ihipStream_tbEUlT_E0_NS1_11comp_targetILNS1_3genE4ELNS1_11target_archE910ELNS1_3gpuE8ELNS1_3repE0EEENS1_30default_config_static_selectorELNS0_4arch9wavefront6targetE0EEEvSF_,"axG",@progbits,_ZN7rocprim17ROCPRIM_400000_NS6detail17trampoline_kernelINS0_14default_configENS1_22reduce_config_selectorI18summary_stats_dataIfEEEZNS1_11reduce_implILb1ES3_PS6_S9_S6_23summary_stats_binary_opIfEEE10hipError_tPvRmT1_T2_T3_mT4_P12ihipStream_tbEUlT_E0_NS1_11comp_targetILNS1_3genE4ELNS1_11target_archE910ELNS1_3gpuE8ELNS1_3repE0EEENS1_30default_config_static_selectorELNS0_4arch9wavefront6targetE0EEEvSF_,comdat
	.protected	_ZN7rocprim17ROCPRIM_400000_NS6detail17trampoline_kernelINS0_14default_configENS1_22reduce_config_selectorI18summary_stats_dataIfEEEZNS1_11reduce_implILb1ES3_PS6_S9_S6_23summary_stats_binary_opIfEEE10hipError_tPvRmT1_T2_T3_mT4_P12ihipStream_tbEUlT_E0_NS1_11comp_targetILNS1_3genE4ELNS1_11target_archE910ELNS1_3gpuE8ELNS1_3repE0EEENS1_30default_config_static_selectorELNS0_4arch9wavefront6targetE0EEEvSF_ ; -- Begin function _ZN7rocprim17ROCPRIM_400000_NS6detail17trampoline_kernelINS0_14default_configENS1_22reduce_config_selectorI18summary_stats_dataIfEEEZNS1_11reduce_implILb1ES3_PS6_S9_S6_23summary_stats_binary_opIfEEE10hipError_tPvRmT1_T2_T3_mT4_P12ihipStream_tbEUlT_E0_NS1_11comp_targetILNS1_3genE4ELNS1_11target_archE910ELNS1_3gpuE8ELNS1_3repE0EEENS1_30default_config_static_selectorELNS0_4arch9wavefront6targetE0EEEvSF_
	.globl	_ZN7rocprim17ROCPRIM_400000_NS6detail17trampoline_kernelINS0_14default_configENS1_22reduce_config_selectorI18summary_stats_dataIfEEEZNS1_11reduce_implILb1ES3_PS6_S9_S6_23summary_stats_binary_opIfEEE10hipError_tPvRmT1_T2_T3_mT4_P12ihipStream_tbEUlT_E0_NS1_11comp_targetILNS1_3genE4ELNS1_11target_archE910ELNS1_3gpuE8ELNS1_3repE0EEENS1_30default_config_static_selectorELNS0_4arch9wavefront6targetE0EEEvSF_
	.p2align	8
	.type	_ZN7rocprim17ROCPRIM_400000_NS6detail17trampoline_kernelINS0_14default_configENS1_22reduce_config_selectorI18summary_stats_dataIfEEEZNS1_11reduce_implILb1ES3_PS6_S9_S6_23summary_stats_binary_opIfEEE10hipError_tPvRmT1_T2_T3_mT4_P12ihipStream_tbEUlT_E0_NS1_11comp_targetILNS1_3genE4ELNS1_11target_archE910ELNS1_3gpuE8ELNS1_3repE0EEENS1_30default_config_static_selectorELNS0_4arch9wavefront6targetE0EEEvSF_,@function
_ZN7rocprim17ROCPRIM_400000_NS6detail17trampoline_kernelINS0_14default_configENS1_22reduce_config_selectorI18summary_stats_dataIfEEEZNS1_11reduce_implILb1ES3_PS6_S9_S6_23summary_stats_binary_opIfEEE10hipError_tPvRmT1_T2_T3_mT4_P12ihipStream_tbEUlT_E0_NS1_11comp_targetILNS1_3genE4ELNS1_11target_archE910ELNS1_3gpuE8ELNS1_3repE0EEENS1_30default_config_static_selectorELNS0_4arch9wavefront6targetE0EEEvSF_: ; @_ZN7rocprim17ROCPRIM_400000_NS6detail17trampoline_kernelINS0_14default_configENS1_22reduce_config_selectorI18summary_stats_dataIfEEEZNS1_11reduce_implILb1ES3_PS6_S9_S6_23summary_stats_binary_opIfEEE10hipError_tPvRmT1_T2_T3_mT4_P12ihipStream_tbEUlT_E0_NS1_11comp_targetILNS1_3genE4ELNS1_11target_archE910ELNS1_3gpuE8ELNS1_3repE0EEENS1_30default_config_static_selectorELNS0_4arch9wavefront6targetE0EEEvSF_
; %bb.0:
	.section	.rodata,"a",@progbits
	.p2align	6, 0x0
	.amdhsa_kernel _ZN7rocprim17ROCPRIM_400000_NS6detail17trampoline_kernelINS0_14default_configENS1_22reduce_config_selectorI18summary_stats_dataIfEEEZNS1_11reduce_implILb1ES3_PS6_S9_S6_23summary_stats_binary_opIfEEE10hipError_tPvRmT1_T2_T3_mT4_P12ihipStream_tbEUlT_E0_NS1_11comp_targetILNS1_3genE4ELNS1_11target_archE910ELNS1_3gpuE8ELNS1_3repE0EEENS1_30default_config_static_selectorELNS0_4arch9wavefront6targetE0EEEvSF_
		.amdhsa_group_segment_fixed_size 0
		.amdhsa_private_segment_fixed_size 0
		.amdhsa_kernarg_size 80
		.amdhsa_user_sgpr_count 2
		.amdhsa_user_sgpr_dispatch_ptr 0
		.amdhsa_user_sgpr_queue_ptr 0
		.amdhsa_user_sgpr_kernarg_segment_ptr 1
		.amdhsa_user_sgpr_dispatch_id 0
		.amdhsa_user_sgpr_kernarg_preload_length 0
		.amdhsa_user_sgpr_kernarg_preload_offset 0
		.amdhsa_user_sgpr_private_segment_size 0
		.amdhsa_wavefront_size32 1
		.amdhsa_uses_dynamic_stack 0
		.amdhsa_enable_private_segment 0
		.amdhsa_system_sgpr_workgroup_id_x 1
		.amdhsa_system_sgpr_workgroup_id_y 0
		.amdhsa_system_sgpr_workgroup_id_z 0
		.amdhsa_system_sgpr_workgroup_info 0
		.amdhsa_system_vgpr_workitem_id 0
		.amdhsa_next_free_vgpr 1
		.amdhsa_next_free_sgpr 1
		.amdhsa_named_barrier_count 0
		.amdhsa_reserve_vcc 0
		.amdhsa_float_round_mode_32 0
		.amdhsa_float_round_mode_16_64 0
		.amdhsa_float_denorm_mode_32 3
		.amdhsa_float_denorm_mode_16_64 3
		.amdhsa_fp16_overflow 0
		.amdhsa_memory_ordered 1
		.amdhsa_forward_progress 1
		.amdhsa_inst_pref_size 0
		.amdhsa_round_robin_scheduling 0
		.amdhsa_exception_fp_ieee_invalid_op 0
		.amdhsa_exception_fp_denorm_src 0
		.amdhsa_exception_fp_ieee_div_zero 0
		.amdhsa_exception_fp_ieee_overflow 0
		.amdhsa_exception_fp_ieee_underflow 0
		.amdhsa_exception_fp_ieee_inexact 0
		.amdhsa_exception_int_div_zero 0
	.end_amdhsa_kernel
	.section	.text._ZN7rocprim17ROCPRIM_400000_NS6detail17trampoline_kernelINS0_14default_configENS1_22reduce_config_selectorI18summary_stats_dataIfEEEZNS1_11reduce_implILb1ES3_PS6_S9_S6_23summary_stats_binary_opIfEEE10hipError_tPvRmT1_T2_T3_mT4_P12ihipStream_tbEUlT_E0_NS1_11comp_targetILNS1_3genE4ELNS1_11target_archE910ELNS1_3gpuE8ELNS1_3repE0EEENS1_30default_config_static_selectorELNS0_4arch9wavefront6targetE0EEEvSF_,"axG",@progbits,_ZN7rocprim17ROCPRIM_400000_NS6detail17trampoline_kernelINS0_14default_configENS1_22reduce_config_selectorI18summary_stats_dataIfEEEZNS1_11reduce_implILb1ES3_PS6_S9_S6_23summary_stats_binary_opIfEEE10hipError_tPvRmT1_T2_T3_mT4_P12ihipStream_tbEUlT_E0_NS1_11comp_targetILNS1_3genE4ELNS1_11target_archE910ELNS1_3gpuE8ELNS1_3repE0EEENS1_30default_config_static_selectorELNS0_4arch9wavefront6targetE0EEEvSF_,comdat
.Lfunc_end2:
	.size	_ZN7rocprim17ROCPRIM_400000_NS6detail17trampoline_kernelINS0_14default_configENS1_22reduce_config_selectorI18summary_stats_dataIfEEEZNS1_11reduce_implILb1ES3_PS6_S9_S6_23summary_stats_binary_opIfEEE10hipError_tPvRmT1_T2_T3_mT4_P12ihipStream_tbEUlT_E0_NS1_11comp_targetILNS1_3genE4ELNS1_11target_archE910ELNS1_3gpuE8ELNS1_3repE0EEENS1_30default_config_static_selectorELNS0_4arch9wavefront6targetE0EEEvSF_, .Lfunc_end2-_ZN7rocprim17ROCPRIM_400000_NS6detail17trampoline_kernelINS0_14default_configENS1_22reduce_config_selectorI18summary_stats_dataIfEEEZNS1_11reduce_implILb1ES3_PS6_S9_S6_23summary_stats_binary_opIfEEE10hipError_tPvRmT1_T2_T3_mT4_P12ihipStream_tbEUlT_E0_NS1_11comp_targetILNS1_3genE4ELNS1_11target_archE910ELNS1_3gpuE8ELNS1_3repE0EEENS1_30default_config_static_selectorELNS0_4arch9wavefront6targetE0EEEvSF_
                                        ; -- End function
	.set _ZN7rocprim17ROCPRIM_400000_NS6detail17trampoline_kernelINS0_14default_configENS1_22reduce_config_selectorI18summary_stats_dataIfEEEZNS1_11reduce_implILb1ES3_PS6_S9_S6_23summary_stats_binary_opIfEEE10hipError_tPvRmT1_T2_T3_mT4_P12ihipStream_tbEUlT_E0_NS1_11comp_targetILNS1_3genE4ELNS1_11target_archE910ELNS1_3gpuE8ELNS1_3repE0EEENS1_30default_config_static_selectorELNS0_4arch9wavefront6targetE0EEEvSF_.num_vgpr, 0
	.set _ZN7rocprim17ROCPRIM_400000_NS6detail17trampoline_kernelINS0_14default_configENS1_22reduce_config_selectorI18summary_stats_dataIfEEEZNS1_11reduce_implILb1ES3_PS6_S9_S6_23summary_stats_binary_opIfEEE10hipError_tPvRmT1_T2_T3_mT4_P12ihipStream_tbEUlT_E0_NS1_11comp_targetILNS1_3genE4ELNS1_11target_archE910ELNS1_3gpuE8ELNS1_3repE0EEENS1_30default_config_static_selectorELNS0_4arch9wavefront6targetE0EEEvSF_.num_agpr, 0
	.set _ZN7rocprim17ROCPRIM_400000_NS6detail17trampoline_kernelINS0_14default_configENS1_22reduce_config_selectorI18summary_stats_dataIfEEEZNS1_11reduce_implILb1ES3_PS6_S9_S6_23summary_stats_binary_opIfEEE10hipError_tPvRmT1_T2_T3_mT4_P12ihipStream_tbEUlT_E0_NS1_11comp_targetILNS1_3genE4ELNS1_11target_archE910ELNS1_3gpuE8ELNS1_3repE0EEENS1_30default_config_static_selectorELNS0_4arch9wavefront6targetE0EEEvSF_.numbered_sgpr, 0
	.set _ZN7rocprim17ROCPRIM_400000_NS6detail17trampoline_kernelINS0_14default_configENS1_22reduce_config_selectorI18summary_stats_dataIfEEEZNS1_11reduce_implILb1ES3_PS6_S9_S6_23summary_stats_binary_opIfEEE10hipError_tPvRmT1_T2_T3_mT4_P12ihipStream_tbEUlT_E0_NS1_11comp_targetILNS1_3genE4ELNS1_11target_archE910ELNS1_3gpuE8ELNS1_3repE0EEENS1_30default_config_static_selectorELNS0_4arch9wavefront6targetE0EEEvSF_.num_named_barrier, 0
	.set _ZN7rocprim17ROCPRIM_400000_NS6detail17trampoline_kernelINS0_14default_configENS1_22reduce_config_selectorI18summary_stats_dataIfEEEZNS1_11reduce_implILb1ES3_PS6_S9_S6_23summary_stats_binary_opIfEEE10hipError_tPvRmT1_T2_T3_mT4_P12ihipStream_tbEUlT_E0_NS1_11comp_targetILNS1_3genE4ELNS1_11target_archE910ELNS1_3gpuE8ELNS1_3repE0EEENS1_30default_config_static_selectorELNS0_4arch9wavefront6targetE0EEEvSF_.private_seg_size, 0
	.set _ZN7rocprim17ROCPRIM_400000_NS6detail17trampoline_kernelINS0_14default_configENS1_22reduce_config_selectorI18summary_stats_dataIfEEEZNS1_11reduce_implILb1ES3_PS6_S9_S6_23summary_stats_binary_opIfEEE10hipError_tPvRmT1_T2_T3_mT4_P12ihipStream_tbEUlT_E0_NS1_11comp_targetILNS1_3genE4ELNS1_11target_archE910ELNS1_3gpuE8ELNS1_3repE0EEENS1_30default_config_static_selectorELNS0_4arch9wavefront6targetE0EEEvSF_.uses_vcc, 0
	.set _ZN7rocprim17ROCPRIM_400000_NS6detail17trampoline_kernelINS0_14default_configENS1_22reduce_config_selectorI18summary_stats_dataIfEEEZNS1_11reduce_implILb1ES3_PS6_S9_S6_23summary_stats_binary_opIfEEE10hipError_tPvRmT1_T2_T3_mT4_P12ihipStream_tbEUlT_E0_NS1_11comp_targetILNS1_3genE4ELNS1_11target_archE910ELNS1_3gpuE8ELNS1_3repE0EEENS1_30default_config_static_selectorELNS0_4arch9wavefront6targetE0EEEvSF_.uses_flat_scratch, 0
	.set _ZN7rocprim17ROCPRIM_400000_NS6detail17trampoline_kernelINS0_14default_configENS1_22reduce_config_selectorI18summary_stats_dataIfEEEZNS1_11reduce_implILb1ES3_PS6_S9_S6_23summary_stats_binary_opIfEEE10hipError_tPvRmT1_T2_T3_mT4_P12ihipStream_tbEUlT_E0_NS1_11comp_targetILNS1_3genE4ELNS1_11target_archE910ELNS1_3gpuE8ELNS1_3repE0EEENS1_30default_config_static_selectorELNS0_4arch9wavefront6targetE0EEEvSF_.has_dyn_sized_stack, 0
	.set _ZN7rocprim17ROCPRIM_400000_NS6detail17trampoline_kernelINS0_14default_configENS1_22reduce_config_selectorI18summary_stats_dataIfEEEZNS1_11reduce_implILb1ES3_PS6_S9_S6_23summary_stats_binary_opIfEEE10hipError_tPvRmT1_T2_T3_mT4_P12ihipStream_tbEUlT_E0_NS1_11comp_targetILNS1_3genE4ELNS1_11target_archE910ELNS1_3gpuE8ELNS1_3repE0EEENS1_30default_config_static_selectorELNS0_4arch9wavefront6targetE0EEEvSF_.has_recursion, 0
	.set _ZN7rocprim17ROCPRIM_400000_NS6detail17trampoline_kernelINS0_14default_configENS1_22reduce_config_selectorI18summary_stats_dataIfEEEZNS1_11reduce_implILb1ES3_PS6_S9_S6_23summary_stats_binary_opIfEEE10hipError_tPvRmT1_T2_T3_mT4_P12ihipStream_tbEUlT_E0_NS1_11comp_targetILNS1_3genE4ELNS1_11target_archE910ELNS1_3gpuE8ELNS1_3repE0EEENS1_30default_config_static_selectorELNS0_4arch9wavefront6targetE0EEEvSF_.has_indirect_call, 0
	.section	.AMDGPU.csdata,"",@progbits
; Kernel info:
; codeLenInByte = 0
; TotalNumSgprs: 0
; NumVgprs: 0
; ScratchSize: 0
; MemoryBound: 0
; FloatMode: 240
; IeeeMode: 1
; LDSByteSize: 0 bytes/workgroup (compile time only)
; SGPRBlocks: 0
; VGPRBlocks: 0
; NumSGPRsForWavesPerEU: 1
; NumVGPRsForWavesPerEU: 1
; NamedBarCnt: 0
; Occupancy: 16
; WaveLimiterHint : 0
; COMPUTE_PGM_RSRC2:SCRATCH_EN: 0
; COMPUTE_PGM_RSRC2:USER_SGPR: 2
; COMPUTE_PGM_RSRC2:TRAP_HANDLER: 0
; COMPUTE_PGM_RSRC2:TGID_X_EN: 1
; COMPUTE_PGM_RSRC2:TGID_Y_EN: 0
; COMPUTE_PGM_RSRC2:TGID_Z_EN: 0
; COMPUTE_PGM_RSRC2:TIDIG_COMP_CNT: 0
	.section	.text._ZN7rocprim17ROCPRIM_400000_NS6detail17trampoline_kernelINS0_14default_configENS1_22reduce_config_selectorI18summary_stats_dataIfEEEZNS1_11reduce_implILb1ES3_PS6_S9_S6_23summary_stats_binary_opIfEEE10hipError_tPvRmT1_T2_T3_mT4_P12ihipStream_tbEUlT_E0_NS1_11comp_targetILNS1_3genE3ELNS1_11target_archE908ELNS1_3gpuE7ELNS1_3repE0EEENS1_30default_config_static_selectorELNS0_4arch9wavefront6targetE0EEEvSF_,"axG",@progbits,_ZN7rocprim17ROCPRIM_400000_NS6detail17trampoline_kernelINS0_14default_configENS1_22reduce_config_selectorI18summary_stats_dataIfEEEZNS1_11reduce_implILb1ES3_PS6_S9_S6_23summary_stats_binary_opIfEEE10hipError_tPvRmT1_T2_T3_mT4_P12ihipStream_tbEUlT_E0_NS1_11comp_targetILNS1_3genE3ELNS1_11target_archE908ELNS1_3gpuE7ELNS1_3repE0EEENS1_30default_config_static_selectorELNS0_4arch9wavefront6targetE0EEEvSF_,comdat
	.protected	_ZN7rocprim17ROCPRIM_400000_NS6detail17trampoline_kernelINS0_14default_configENS1_22reduce_config_selectorI18summary_stats_dataIfEEEZNS1_11reduce_implILb1ES3_PS6_S9_S6_23summary_stats_binary_opIfEEE10hipError_tPvRmT1_T2_T3_mT4_P12ihipStream_tbEUlT_E0_NS1_11comp_targetILNS1_3genE3ELNS1_11target_archE908ELNS1_3gpuE7ELNS1_3repE0EEENS1_30default_config_static_selectorELNS0_4arch9wavefront6targetE0EEEvSF_ ; -- Begin function _ZN7rocprim17ROCPRIM_400000_NS6detail17trampoline_kernelINS0_14default_configENS1_22reduce_config_selectorI18summary_stats_dataIfEEEZNS1_11reduce_implILb1ES3_PS6_S9_S6_23summary_stats_binary_opIfEEE10hipError_tPvRmT1_T2_T3_mT4_P12ihipStream_tbEUlT_E0_NS1_11comp_targetILNS1_3genE3ELNS1_11target_archE908ELNS1_3gpuE7ELNS1_3repE0EEENS1_30default_config_static_selectorELNS0_4arch9wavefront6targetE0EEEvSF_
	.globl	_ZN7rocprim17ROCPRIM_400000_NS6detail17trampoline_kernelINS0_14default_configENS1_22reduce_config_selectorI18summary_stats_dataIfEEEZNS1_11reduce_implILb1ES3_PS6_S9_S6_23summary_stats_binary_opIfEEE10hipError_tPvRmT1_T2_T3_mT4_P12ihipStream_tbEUlT_E0_NS1_11comp_targetILNS1_3genE3ELNS1_11target_archE908ELNS1_3gpuE7ELNS1_3repE0EEENS1_30default_config_static_selectorELNS0_4arch9wavefront6targetE0EEEvSF_
	.p2align	8
	.type	_ZN7rocprim17ROCPRIM_400000_NS6detail17trampoline_kernelINS0_14default_configENS1_22reduce_config_selectorI18summary_stats_dataIfEEEZNS1_11reduce_implILb1ES3_PS6_S9_S6_23summary_stats_binary_opIfEEE10hipError_tPvRmT1_T2_T3_mT4_P12ihipStream_tbEUlT_E0_NS1_11comp_targetILNS1_3genE3ELNS1_11target_archE908ELNS1_3gpuE7ELNS1_3repE0EEENS1_30default_config_static_selectorELNS0_4arch9wavefront6targetE0EEEvSF_,@function
_ZN7rocprim17ROCPRIM_400000_NS6detail17trampoline_kernelINS0_14default_configENS1_22reduce_config_selectorI18summary_stats_dataIfEEEZNS1_11reduce_implILb1ES3_PS6_S9_S6_23summary_stats_binary_opIfEEE10hipError_tPvRmT1_T2_T3_mT4_P12ihipStream_tbEUlT_E0_NS1_11comp_targetILNS1_3genE3ELNS1_11target_archE908ELNS1_3gpuE7ELNS1_3repE0EEENS1_30default_config_static_selectorELNS0_4arch9wavefront6targetE0EEEvSF_: ; @_ZN7rocprim17ROCPRIM_400000_NS6detail17trampoline_kernelINS0_14default_configENS1_22reduce_config_selectorI18summary_stats_dataIfEEEZNS1_11reduce_implILb1ES3_PS6_S9_S6_23summary_stats_binary_opIfEEE10hipError_tPvRmT1_T2_T3_mT4_P12ihipStream_tbEUlT_E0_NS1_11comp_targetILNS1_3genE3ELNS1_11target_archE908ELNS1_3gpuE7ELNS1_3repE0EEENS1_30default_config_static_selectorELNS0_4arch9wavefront6targetE0EEEvSF_
; %bb.0:
	.section	.rodata,"a",@progbits
	.p2align	6, 0x0
	.amdhsa_kernel _ZN7rocprim17ROCPRIM_400000_NS6detail17trampoline_kernelINS0_14default_configENS1_22reduce_config_selectorI18summary_stats_dataIfEEEZNS1_11reduce_implILb1ES3_PS6_S9_S6_23summary_stats_binary_opIfEEE10hipError_tPvRmT1_T2_T3_mT4_P12ihipStream_tbEUlT_E0_NS1_11comp_targetILNS1_3genE3ELNS1_11target_archE908ELNS1_3gpuE7ELNS1_3repE0EEENS1_30default_config_static_selectorELNS0_4arch9wavefront6targetE0EEEvSF_
		.amdhsa_group_segment_fixed_size 0
		.amdhsa_private_segment_fixed_size 0
		.amdhsa_kernarg_size 80
		.amdhsa_user_sgpr_count 2
		.amdhsa_user_sgpr_dispatch_ptr 0
		.amdhsa_user_sgpr_queue_ptr 0
		.amdhsa_user_sgpr_kernarg_segment_ptr 1
		.amdhsa_user_sgpr_dispatch_id 0
		.amdhsa_user_sgpr_kernarg_preload_length 0
		.amdhsa_user_sgpr_kernarg_preload_offset 0
		.amdhsa_user_sgpr_private_segment_size 0
		.amdhsa_wavefront_size32 1
		.amdhsa_uses_dynamic_stack 0
		.amdhsa_enable_private_segment 0
		.amdhsa_system_sgpr_workgroup_id_x 1
		.amdhsa_system_sgpr_workgroup_id_y 0
		.amdhsa_system_sgpr_workgroup_id_z 0
		.amdhsa_system_sgpr_workgroup_info 0
		.amdhsa_system_vgpr_workitem_id 0
		.amdhsa_next_free_vgpr 1
		.amdhsa_next_free_sgpr 1
		.amdhsa_named_barrier_count 0
		.amdhsa_reserve_vcc 0
		.amdhsa_float_round_mode_32 0
		.amdhsa_float_round_mode_16_64 0
		.amdhsa_float_denorm_mode_32 3
		.amdhsa_float_denorm_mode_16_64 3
		.amdhsa_fp16_overflow 0
		.amdhsa_memory_ordered 1
		.amdhsa_forward_progress 1
		.amdhsa_inst_pref_size 0
		.amdhsa_round_robin_scheduling 0
		.amdhsa_exception_fp_ieee_invalid_op 0
		.amdhsa_exception_fp_denorm_src 0
		.amdhsa_exception_fp_ieee_div_zero 0
		.amdhsa_exception_fp_ieee_overflow 0
		.amdhsa_exception_fp_ieee_underflow 0
		.amdhsa_exception_fp_ieee_inexact 0
		.amdhsa_exception_int_div_zero 0
	.end_amdhsa_kernel
	.section	.text._ZN7rocprim17ROCPRIM_400000_NS6detail17trampoline_kernelINS0_14default_configENS1_22reduce_config_selectorI18summary_stats_dataIfEEEZNS1_11reduce_implILb1ES3_PS6_S9_S6_23summary_stats_binary_opIfEEE10hipError_tPvRmT1_T2_T3_mT4_P12ihipStream_tbEUlT_E0_NS1_11comp_targetILNS1_3genE3ELNS1_11target_archE908ELNS1_3gpuE7ELNS1_3repE0EEENS1_30default_config_static_selectorELNS0_4arch9wavefront6targetE0EEEvSF_,"axG",@progbits,_ZN7rocprim17ROCPRIM_400000_NS6detail17trampoline_kernelINS0_14default_configENS1_22reduce_config_selectorI18summary_stats_dataIfEEEZNS1_11reduce_implILb1ES3_PS6_S9_S6_23summary_stats_binary_opIfEEE10hipError_tPvRmT1_T2_T3_mT4_P12ihipStream_tbEUlT_E0_NS1_11comp_targetILNS1_3genE3ELNS1_11target_archE908ELNS1_3gpuE7ELNS1_3repE0EEENS1_30default_config_static_selectorELNS0_4arch9wavefront6targetE0EEEvSF_,comdat
.Lfunc_end3:
	.size	_ZN7rocprim17ROCPRIM_400000_NS6detail17trampoline_kernelINS0_14default_configENS1_22reduce_config_selectorI18summary_stats_dataIfEEEZNS1_11reduce_implILb1ES3_PS6_S9_S6_23summary_stats_binary_opIfEEE10hipError_tPvRmT1_T2_T3_mT4_P12ihipStream_tbEUlT_E0_NS1_11comp_targetILNS1_3genE3ELNS1_11target_archE908ELNS1_3gpuE7ELNS1_3repE0EEENS1_30default_config_static_selectorELNS0_4arch9wavefront6targetE0EEEvSF_, .Lfunc_end3-_ZN7rocprim17ROCPRIM_400000_NS6detail17trampoline_kernelINS0_14default_configENS1_22reduce_config_selectorI18summary_stats_dataIfEEEZNS1_11reduce_implILb1ES3_PS6_S9_S6_23summary_stats_binary_opIfEEE10hipError_tPvRmT1_T2_T3_mT4_P12ihipStream_tbEUlT_E0_NS1_11comp_targetILNS1_3genE3ELNS1_11target_archE908ELNS1_3gpuE7ELNS1_3repE0EEENS1_30default_config_static_selectorELNS0_4arch9wavefront6targetE0EEEvSF_
                                        ; -- End function
	.set _ZN7rocprim17ROCPRIM_400000_NS6detail17trampoline_kernelINS0_14default_configENS1_22reduce_config_selectorI18summary_stats_dataIfEEEZNS1_11reduce_implILb1ES3_PS6_S9_S6_23summary_stats_binary_opIfEEE10hipError_tPvRmT1_T2_T3_mT4_P12ihipStream_tbEUlT_E0_NS1_11comp_targetILNS1_3genE3ELNS1_11target_archE908ELNS1_3gpuE7ELNS1_3repE0EEENS1_30default_config_static_selectorELNS0_4arch9wavefront6targetE0EEEvSF_.num_vgpr, 0
	.set _ZN7rocprim17ROCPRIM_400000_NS6detail17trampoline_kernelINS0_14default_configENS1_22reduce_config_selectorI18summary_stats_dataIfEEEZNS1_11reduce_implILb1ES3_PS6_S9_S6_23summary_stats_binary_opIfEEE10hipError_tPvRmT1_T2_T3_mT4_P12ihipStream_tbEUlT_E0_NS1_11comp_targetILNS1_3genE3ELNS1_11target_archE908ELNS1_3gpuE7ELNS1_3repE0EEENS1_30default_config_static_selectorELNS0_4arch9wavefront6targetE0EEEvSF_.num_agpr, 0
	.set _ZN7rocprim17ROCPRIM_400000_NS6detail17trampoline_kernelINS0_14default_configENS1_22reduce_config_selectorI18summary_stats_dataIfEEEZNS1_11reduce_implILb1ES3_PS6_S9_S6_23summary_stats_binary_opIfEEE10hipError_tPvRmT1_T2_T3_mT4_P12ihipStream_tbEUlT_E0_NS1_11comp_targetILNS1_3genE3ELNS1_11target_archE908ELNS1_3gpuE7ELNS1_3repE0EEENS1_30default_config_static_selectorELNS0_4arch9wavefront6targetE0EEEvSF_.numbered_sgpr, 0
	.set _ZN7rocprim17ROCPRIM_400000_NS6detail17trampoline_kernelINS0_14default_configENS1_22reduce_config_selectorI18summary_stats_dataIfEEEZNS1_11reduce_implILb1ES3_PS6_S9_S6_23summary_stats_binary_opIfEEE10hipError_tPvRmT1_T2_T3_mT4_P12ihipStream_tbEUlT_E0_NS1_11comp_targetILNS1_3genE3ELNS1_11target_archE908ELNS1_3gpuE7ELNS1_3repE0EEENS1_30default_config_static_selectorELNS0_4arch9wavefront6targetE0EEEvSF_.num_named_barrier, 0
	.set _ZN7rocprim17ROCPRIM_400000_NS6detail17trampoline_kernelINS0_14default_configENS1_22reduce_config_selectorI18summary_stats_dataIfEEEZNS1_11reduce_implILb1ES3_PS6_S9_S6_23summary_stats_binary_opIfEEE10hipError_tPvRmT1_T2_T3_mT4_P12ihipStream_tbEUlT_E0_NS1_11comp_targetILNS1_3genE3ELNS1_11target_archE908ELNS1_3gpuE7ELNS1_3repE0EEENS1_30default_config_static_selectorELNS0_4arch9wavefront6targetE0EEEvSF_.private_seg_size, 0
	.set _ZN7rocprim17ROCPRIM_400000_NS6detail17trampoline_kernelINS0_14default_configENS1_22reduce_config_selectorI18summary_stats_dataIfEEEZNS1_11reduce_implILb1ES3_PS6_S9_S6_23summary_stats_binary_opIfEEE10hipError_tPvRmT1_T2_T3_mT4_P12ihipStream_tbEUlT_E0_NS1_11comp_targetILNS1_3genE3ELNS1_11target_archE908ELNS1_3gpuE7ELNS1_3repE0EEENS1_30default_config_static_selectorELNS0_4arch9wavefront6targetE0EEEvSF_.uses_vcc, 0
	.set _ZN7rocprim17ROCPRIM_400000_NS6detail17trampoline_kernelINS0_14default_configENS1_22reduce_config_selectorI18summary_stats_dataIfEEEZNS1_11reduce_implILb1ES3_PS6_S9_S6_23summary_stats_binary_opIfEEE10hipError_tPvRmT1_T2_T3_mT4_P12ihipStream_tbEUlT_E0_NS1_11comp_targetILNS1_3genE3ELNS1_11target_archE908ELNS1_3gpuE7ELNS1_3repE0EEENS1_30default_config_static_selectorELNS0_4arch9wavefront6targetE0EEEvSF_.uses_flat_scratch, 0
	.set _ZN7rocprim17ROCPRIM_400000_NS6detail17trampoline_kernelINS0_14default_configENS1_22reduce_config_selectorI18summary_stats_dataIfEEEZNS1_11reduce_implILb1ES3_PS6_S9_S6_23summary_stats_binary_opIfEEE10hipError_tPvRmT1_T2_T3_mT4_P12ihipStream_tbEUlT_E0_NS1_11comp_targetILNS1_3genE3ELNS1_11target_archE908ELNS1_3gpuE7ELNS1_3repE0EEENS1_30default_config_static_selectorELNS0_4arch9wavefront6targetE0EEEvSF_.has_dyn_sized_stack, 0
	.set _ZN7rocprim17ROCPRIM_400000_NS6detail17trampoline_kernelINS0_14default_configENS1_22reduce_config_selectorI18summary_stats_dataIfEEEZNS1_11reduce_implILb1ES3_PS6_S9_S6_23summary_stats_binary_opIfEEE10hipError_tPvRmT1_T2_T3_mT4_P12ihipStream_tbEUlT_E0_NS1_11comp_targetILNS1_3genE3ELNS1_11target_archE908ELNS1_3gpuE7ELNS1_3repE0EEENS1_30default_config_static_selectorELNS0_4arch9wavefront6targetE0EEEvSF_.has_recursion, 0
	.set _ZN7rocprim17ROCPRIM_400000_NS6detail17trampoline_kernelINS0_14default_configENS1_22reduce_config_selectorI18summary_stats_dataIfEEEZNS1_11reduce_implILb1ES3_PS6_S9_S6_23summary_stats_binary_opIfEEE10hipError_tPvRmT1_T2_T3_mT4_P12ihipStream_tbEUlT_E0_NS1_11comp_targetILNS1_3genE3ELNS1_11target_archE908ELNS1_3gpuE7ELNS1_3repE0EEENS1_30default_config_static_selectorELNS0_4arch9wavefront6targetE0EEEvSF_.has_indirect_call, 0
	.section	.AMDGPU.csdata,"",@progbits
; Kernel info:
; codeLenInByte = 0
; TotalNumSgprs: 0
; NumVgprs: 0
; ScratchSize: 0
; MemoryBound: 0
; FloatMode: 240
; IeeeMode: 1
; LDSByteSize: 0 bytes/workgroup (compile time only)
; SGPRBlocks: 0
; VGPRBlocks: 0
; NumSGPRsForWavesPerEU: 1
; NumVGPRsForWavesPerEU: 1
; NamedBarCnt: 0
; Occupancy: 16
; WaveLimiterHint : 0
; COMPUTE_PGM_RSRC2:SCRATCH_EN: 0
; COMPUTE_PGM_RSRC2:USER_SGPR: 2
; COMPUTE_PGM_RSRC2:TRAP_HANDLER: 0
; COMPUTE_PGM_RSRC2:TGID_X_EN: 1
; COMPUTE_PGM_RSRC2:TGID_Y_EN: 0
; COMPUTE_PGM_RSRC2:TGID_Z_EN: 0
; COMPUTE_PGM_RSRC2:TIDIG_COMP_CNT: 0
	.section	.text._ZN7rocprim17ROCPRIM_400000_NS6detail17trampoline_kernelINS0_14default_configENS1_22reduce_config_selectorI18summary_stats_dataIfEEEZNS1_11reduce_implILb1ES3_PS6_S9_S6_23summary_stats_binary_opIfEEE10hipError_tPvRmT1_T2_T3_mT4_P12ihipStream_tbEUlT_E0_NS1_11comp_targetILNS1_3genE2ELNS1_11target_archE906ELNS1_3gpuE6ELNS1_3repE0EEENS1_30default_config_static_selectorELNS0_4arch9wavefront6targetE0EEEvSF_,"axG",@progbits,_ZN7rocprim17ROCPRIM_400000_NS6detail17trampoline_kernelINS0_14default_configENS1_22reduce_config_selectorI18summary_stats_dataIfEEEZNS1_11reduce_implILb1ES3_PS6_S9_S6_23summary_stats_binary_opIfEEE10hipError_tPvRmT1_T2_T3_mT4_P12ihipStream_tbEUlT_E0_NS1_11comp_targetILNS1_3genE2ELNS1_11target_archE906ELNS1_3gpuE6ELNS1_3repE0EEENS1_30default_config_static_selectorELNS0_4arch9wavefront6targetE0EEEvSF_,comdat
	.protected	_ZN7rocprim17ROCPRIM_400000_NS6detail17trampoline_kernelINS0_14default_configENS1_22reduce_config_selectorI18summary_stats_dataIfEEEZNS1_11reduce_implILb1ES3_PS6_S9_S6_23summary_stats_binary_opIfEEE10hipError_tPvRmT1_T2_T3_mT4_P12ihipStream_tbEUlT_E0_NS1_11comp_targetILNS1_3genE2ELNS1_11target_archE906ELNS1_3gpuE6ELNS1_3repE0EEENS1_30default_config_static_selectorELNS0_4arch9wavefront6targetE0EEEvSF_ ; -- Begin function _ZN7rocprim17ROCPRIM_400000_NS6detail17trampoline_kernelINS0_14default_configENS1_22reduce_config_selectorI18summary_stats_dataIfEEEZNS1_11reduce_implILb1ES3_PS6_S9_S6_23summary_stats_binary_opIfEEE10hipError_tPvRmT1_T2_T3_mT4_P12ihipStream_tbEUlT_E0_NS1_11comp_targetILNS1_3genE2ELNS1_11target_archE906ELNS1_3gpuE6ELNS1_3repE0EEENS1_30default_config_static_selectorELNS0_4arch9wavefront6targetE0EEEvSF_
	.globl	_ZN7rocprim17ROCPRIM_400000_NS6detail17trampoline_kernelINS0_14default_configENS1_22reduce_config_selectorI18summary_stats_dataIfEEEZNS1_11reduce_implILb1ES3_PS6_S9_S6_23summary_stats_binary_opIfEEE10hipError_tPvRmT1_T2_T3_mT4_P12ihipStream_tbEUlT_E0_NS1_11comp_targetILNS1_3genE2ELNS1_11target_archE906ELNS1_3gpuE6ELNS1_3repE0EEENS1_30default_config_static_selectorELNS0_4arch9wavefront6targetE0EEEvSF_
	.p2align	8
	.type	_ZN7rocprim17ROCPRIM_400000_NS6detail17trampoline_kernelINS0_14default_configENS1_22reduce_config_selectorI18summary_stats_dataIfEEEZNS1_11reduce_implILb1ES3_PS6_S9_S6_23summary_stats_binary_opIfEEE10hipError_tPvRmT1_T2_T3_mT4_P12ihipStream_tbEUlT_E0_NS1_11comp_targetILNS1_3genE2ELNS1_11target_archE906ELNS1_3gpuE6ELNS1_3repE0EEENS1_30default_config_static_selectorELNS0_4arch9wavefront6targetE0EEEvSF_,@function
_ZN7rocprim17ROCPRIM_400000_NS6detail17trampoline_kernelINS0_14default_configENS1_22reduce_config_selectorI18summary_stats_dataIfEEEZNS1_11reduce_implILb1ES3_PS6_S9_S6_23summary_stats_binary_opIfEEE10hipError_tPvRmT1_T2_T3_mT4_P12ihipStream_tbEUlT_E0_NS1_11comp_targetILNS1_3genE2ELNS1_11target_archE906ELNS1_3gpuE6ELNS1_3repE0EEENS1_30default_config_static_selectorELNS0_4arch9wavefront6targetE0EEEvSF_: ; @_ZN7rocprim17ROCPRIM_400000_NS6detail17trampoline_kernelINS0_14default_configENS1_22reduce_config_selectorI18summary_stats_dataIfEEEZNS1_11reduce_implILb1ES3_PS6_S9_S6_23summary_stats_binary_opIfEEE10hipError_tPvRmT1_T2_T3_mT4_P12ihipStream_tbEUlT_E0_NS1_11comp_targetILNS1_3genE2ELNS1_11target_archE906ELNS1_3gpuE6ELNS1_3repE0EEENS1_30default_config_static_selectorELNS0_4arch9wavefront6targetE0EEEvSF_
; %bb.0:
	.section	.rodata,"a",@progbits
	.p2align	6, 0x0
	.amdhsa_kernel _ZN7rocprim17ROCPRIM_400000_NS6detail17trampoline_kernelINS0_14default_configENS1_22reduce_config_selectorI18summary_stats_dataIfEEEZNS1_11reduce_implILb1ES3_PS6_S9_S6_23summary_stats_binary_opIfEEE10hipError_tPvRmT1_T2_T3_mT4_P12ihipStream_tbEUlT_E0_NS1_11comp_targetILNS1_3genE2ELNS1_11target_archE906ELNS1_3gpuE6ELNS1_3repE0EEENS1_30default_config_static_selectorELNS0_4arch9wavefront6targetE0EEEvSF_
		.amdhsa_group_segment_fixed_size 0
		.amdhsa_private_segment_fixed_size 0
		.amdhsa_kernarg_size 80
		.amdhsa_user_sgpr_count 2
		.amdhsa_user_sgpr_dispatch_ptr 0
		.amdhsa_user_sgpr_queue_ptr 0
		.amdhsa_user_sgpr_kernarg_segment_ptr 1
		.amdhsa_user_sgpr_dispatch_id 0
		.amdhsa_user_sgpr_kernarg_preload_length 0
		.amdhsa_user_sgpr_kernarg_preload_offset 0
		.amdhsa_user_sgpr_private_segment_size 0
		.amdhsa_wavefront_size32 1
		.amdhsa_uses_dynamic_stack 0
		.amdhsa_enable_private_segment 0
		.amdhsa_system_sgpr_workgroup_id_x 1
		.amdhsa_system_sgpr_workgroup_id_y 0
		.amdhsa_system_sgpr_workgroup_id_z 0
		.amdhsa_system_sgpr_workgroup_info 0
		.amdhsa_system_vgpr_workitem_id 0
		.amdhsa_next_free_vgpr 1
		.amdhsa_next_free_sgpr 1
		.amdhsa_named_barrier_count 0
		.amdhsa_reserve_vcc 0
		.amdhsa_float_round_mode_32 0
		.amdhsa_float_round_mode_16_64 0
		.amdhsa_float_denorm_mode_32 3
		.amdhsa_float_denorm_mode_16_64 3
		.amdhsa_fp16_overflow 0
		.amdhsa_memory_ordered 1
		.amdhsa_forward_progress 1
		.amdhsa_inst_pref_size 0
		.amdhsa_round_robin_scheduling 0
		.amdhsa_exception_fp_ieee_invalid_op 0
		.amdhsa_exception_fp_denorm_src 0
		.amdhsa_exception_fp_ieee_div_zero 0
		.amdhsa_exception_fp_ieee_overflow 0
		.amdhsa_exception_fp_ieee_underflow 0
		.amdhsa_exception_fp_ieee_inexact 0
		.amdhsa_exception_int_div_zero 0
	.end_amdhsa_kernel
	.section	.text._ZN7rocprim17ROCPRIM_400000_NS6detail17trampoline_kernelINS0_14default_configENS1_22reduce_config_selectorI18summary_stats_dataIfEEEZNS1_11reduce_implILb1ES3_PS6_S9_S6_23summary_stats_binary_opIfEEE10hipError_tPvRmT1_T2_T3_mT4_P12ihipStream_tbEUlT_E0_NS1_11comp_targetILNS1_3genE2ELNS1_11target_archE906ELNS1_3gpuE6ELNS1_3repE0EEENS1_30default_config_static_selectorELNS0_4arch9wavefront6targetE0EEEvSF_,"axG",@progbits,_ZN7rocprim17ROCPRIM_400000_NS6detail17trampoline_kernelINS0_14default_configENS1_22reduce_config_selectorI18summary_stats_dataIfEEEZNS1_11reduce_implILb1ES3_PS6_S9_S6_23summary_stats_binary_opIfEEE10hipError_tPvRmT1_T2_T3_mT4_P12ihipStream_tbEUlT_E0_NS1_11comp_targetILNS1_3genE2ELNS1_11target_archE906ELNS1_3gpuE6ELNS1_3repE0EEENS1_30default_config_static_selectorELNS0_4arch9wavefront6targetE0EEEvSF_,comdat
.Lfunc_end4:
	.size	_ZN7rocprim17ROCPRIM_400000_NS6detail17trampoline_kernelINS0_14default_configENS1_22reduce_config_selectorI18summary_stats_dataIfEEEZNS1_11reduce_implILb1ES3_PS6_S9_S6_23summary_stats_binary_opIfEEE10hipError_tPvRmT1_T2_T3_mT4_P12ihipStream_tbEUlT_E0_NS1_11comp_targetILNS1_3genE2ELNS1_11target_archE906ELNS1_3gpuE6ELNS1_3repE0EEENS1_30default_config_static_selectorELNS0_4arch9wavefront6targetE0EEEvSF_, .Lfunc_end4-_ZN7rocprim17ROCPRIM_400000_NS6detail17trampoline_kernelINS0_14default_configENS1_22reduce_config_selectorI18summary_stats_dataIfEEEZNS1_11reduce_implILb1ES3_PS6_S9_S6_23summary_stats_binary_opIfEEE10hipError_tPvRmT1_T2_T3_mT4_P12ihipStream_tbEUlT_E0_NS1_11comp_targetILNS1_3genE2ELNS1_11target_archE906ELNS1_3gpuE6ELNS1_3repE0EEENS1_30default_config_static_selectorELNS0_4arch9wavefront6targetE0EEEvSF_
                                        ; -- End function
	.set _ZN7rocprim17ROCPRIM_400000_NS6detail17trampoline_kernelINS0_14default_configENS1_22reduce_config_selectorI18summary_stats_dataIfEEEZNS1_11reduce_implILb1ES3_PS6_S9_S6_23summary_stats_binary_opIfEEE10hipError_tPvRmT1_T2_T3_mT4_P12ihipStream_tbEUlT_E0_NS1_11comp_targetILNS1_3genE2ELNS1_11target_archE906ELNS1_3gpuE6ELNS1_3repE0EEENS1_30default_config_static_selectorELNS0_4arch9wavefront6targetE0EEEvSF_.num_vgpr, 0
	.set _ZN7rocprim17ROCPRIM_400000_NS6detail17trampoline_kernelINS0_14default_configENS1_22reduce_config_selectorI18summary_stats_dataIfEEEZNS1_11reduce_implILb1ES3_PS6_S9_S6_23summary_stats_binary_opIfEEE10hipError_tPvRmT1_T2_T3_mT4_P12ihipStream_tbEUlT_E0_NS1_11comp_targetILNS1_3genE2ELNS1_11target_archE906ELNS1_3gpuE6ELNS1_3repE0EEENS1_30default_config_static_selectorELNS0_4arch9wavefront6targetE0EEEvSF_.num_agpr, 0
	.set _ZN7rocprim17ROCPRIM_400000_NS6detail17trampoline_kernelINS0_14default_configENS1_22reduce_config_selectorI18summary_stats_dataIfEEEZNS1_11reduce_implILb1ES3_PS6_S9_S6_23summary_stats_binary_opIfEEE10hipError_tPvRmT1_T2_T3_mT4_P12ihipStream_tbEUlT_E0_NS1_11comp_targetILNS1_3genE2ELNS1_11target_archE906ELNS1_3gpuE6ELNS1_3repE0EEENS1_30default_config_static_selectorELNS0_4arch9wavefront6targetE0EEEvSF_.numbered_sgpr, 0
	.set _ZN7rocprim17ROCPRIM_400000_NS6detail17trampoline_kernelINS0_14default_configENS1_22reduce_config_selectorI18summary_stats_dataIfEEEZNS1_11reduce_implILb1ES3_PS6_S9_S6_23summary_stats_binary_opIfEEE10hipError_tPvRmT1_T2_T3_mT4_P12ihipStream_tbEUlT_E0_NS1_11comp_targetILNS1_3genE2ELNS1_11target_archE906ELNS1_3gpuE6ELNS1_3repE0EEENS1_30default_config_static_selectorELNS0_4arch9wavefront6targetE0EEEvSF_.num_named_barrier, 0
	.set _ZN7rocprim17ROCPRIM_400000_NS6detail17trampoline_kernelINS0_14default_configENS1_22reduce_config_selectorI18summary_stats_dataIfEEEZNS1_11reduce_implILb1ES3_PS6_S9_S6_23summary_stats_binary_opIfEEE10hipError_tPvRmT1_T2_T3_mT4_P12ihipStream_tbEUlT_E0_NS1_11comp_targetILNS1_3genE2ELNS1_11target_archE906ELNS1_3gpuE6ELNS1_3repE0EEENS1_30default_config_static_selectorELNS0_4arch9wavefront6targetE0EEEvSF_.private_seg_size, 0
	.set _ZN7rocprim17ROCPRIM_400000_NS6detail17trampoline_kernelINS0_14default_configENS1_22reduce_config_selectorI18summary_stats_dataIfEEEZNS1_11reduce_implILb1ES3_PS6_S9_S6_23summary_stats_binary_opIfEEE10hipError_tPvRmT1_T2_T3_mT4_P12ihipStream_tbEUlT_E0_NS1_11comp_targetILNS1_3genE2ELNS1_11target_archE906ELNS1_3gpuE6ELNS1_3repE0EEENS1_30default_config_static_selectorELNS0_4arch9wavefront6targetE0EEEvSF_.uses_vcc, 0
	.set _ZN7rocprim17ROCPRIM_400000_NS6detail17trampoline_kernelINS0_14default_configENS1_22reduce_config_selectorI18summary_stats_dataIfEEEZNS1_11reduce_implILb1ES3_PS6_S9_S6_23summary_stats_binary_opIfEEE10hipError_tPvRmT1_T2_T3_mT4_P12ihipStream_tbEUlT_E0_NS1_11comp_targetILNS1_3genE2ELNS1_11target_archE906ELNS1_3gpuE6ELNS1_3repE0EEENS1_30default_config_static_selectorELNS0_4arch9wavefront6targetE0EEEvSF_.uses_flat_scratch, 0
	.set _ZN7rocprim17ROCPRIM_400000_NS6detail17trampoline_kernelINS0_14default_configENS1_22reduce_config_selectorI18summary_stats_dataIfEEEZNS1_11reduce_implILb1ES3_PS6_S9_S6_23summary_stats_binary_opIfEEE10hipError_tPvRmT1_T2_T3_mT4_P12ihipStream_tbEUlT_E0_NS1_11comp_targetILNS1_3genE2ELNS1_11target_archE906ELNS1_3gpuE6ELNS1_3repE0EEENS1_30default_config_static_selectorELNS0_4arch9wavefront6targetE0EEEvSF_.has_dyn_sized_stack, 0
	.set _ZN7rocprim17ROCPRIM_400000_NS6detail17trampoline_kernelINS0_14default_configENS1_22reduce_config_selectorI18summary_stats_dataIfEEEZNS1_11reduce_implILb1ES3_PS6_S9_S6_23summary_stats_binary_opIfEEE10hipError_tPvRmT1_T2_T3_mT4_P12ihipStream_tbEUlT_E0_NS1_11comp_targetILNS1_3genE2ELNS1_11target_archE906ELNS1_3gpuE6ELNS1_3repE0EEENS1_30default_config_static_selectorELNS0_4arch9wavefront6targetE0EEEvSF_.has_recursion, 0
	.set _ZN7rocprim17ROCPRIM_400000_NS6detail17trampoline_kernelINS0_14default_configENS1_22reduce_config_selectorI18summary_stats_dataIfEEEZNS1_11reduce_implILb1ES3_PS6_S9_S6_23summary_stats_binary_opIfEEE10hipError_tPvRmT1_T2_T3_mT4_P12ihipStream_tbEUlT_E0_NS1_11comp_targetILNS1_3genE2ELNS1_11target_archE906ELNS1_3gpuE6ELNS1_3repE0EEENS1_30default_config_static_selectorELNS0_4arch9wavefront6targetE0EEEvSF_.has_indirect_call, 0
	.section	.AMDGPU.csdata,"",@progbits
; Kernel info:
; codeLenInByte = 0
; TotalNumSgprs: 0
; NumVgprs: 0
; ScratchSize: 0
; MemoryBound: 0
; FloatMode: 240
; IeeeMode: 1
; LDSByteSize: 0 bytes/workgroup (compile time only)
; SGPRBlocks: 0
; VGPRBlocks: 0
; NumSGPRsForWavesPerEU: 1
; NumVGPRsForWavesPerEU: 1
; NamedBarCnt: 0
; Occupancy: 16
; WaveLimiterHint : 0
; COMPUTE_PGM_RSRC2:SCRATCH_EN: 0
; COMPUTE_PGM_RSRC2:USER_SGPR: 2
; COMPUTE_PGM_RSRC2:TRAP_HANDLER: 0
; COMPUTE_PGM_RSRC2:TGID_X_EN: 1
; COMPUTE_PGM_RSRC2:TGID_Y_EN: 0
; COMPUTE_PGM_RSRC2:TGID_Z_EN: 0
; COMPUTE_PGM_RSRC2:TIDIG_COMP_CNT: 0
	.section	.text._ZN7rocprim17ROCPRIM_400000_NS6detail17trampoline_kernelINS0_14default_configENS1_22reduce_config_selectorI18summary_stats_dataIfEEEZNS1_11reduce_implILb1ES3_PS6_S9_S6_23summary_stats_binary_opIfEEE10hipError_tPvRmT1_T2_T3_mT4_P12ihipStream_tbEUlT_E0_NS1_11comp_targetILNS1_3genE10ELNS1_11target_archE1201ELNS1_3gpuE5ELNS1_3repE0EEENS1_30default_config_static_selectorELNS0_4arch9wavefront6targetE0EEEvSF_,"axG",@progbits,_ZN7rocprim17ROCPRIM_400000_NS6detail17trampoline_kernelINS0_14default_configENS1_22reduce_config_selectorI18summary_stats_dataIfEEEZNS1_11reduce_implILb1ES3_PS6_S9_S6_23summary_stats_binary_opIfEEE10hipError_tPvRmT1_T2_T3_mT4_P12ihipStream_tbEUlT_E0_NS1_11comp_targetILNS1_3genE10ELNS1_11target_archE1201ELNS1_3gpuE5ELNS1_3repE0EEENS1_30default_config_static_selectorELNS0_4arch9wavefront6targetE0EEEvSF_,comdat
	.protected	_ZN7rocprim17ROCPRIM_400000_NS6detail17trampoline_kernelINS0_14default_configENS1_22reduce_config_selectorI18summary_stats_dataIfEEEZNS1_11reduce_implILb1ES3_PS6_S9_S6_23summary_stats_binary_opIfEEE10hipError_tPvRmT1_T2_T3_mT4_P12ihipStream_tbEUlT_E0_NS1_11comp_targetILNS1_3genE10ELNS1_11target_archE1201ELNS1_3gpuE5ELNS1_3repE0EEENS1_30default_config_static_selectorELNS0_4arch9wavefront6targetE0EEEvSF_ ; -- Begin function _ZN7rocprim17ROCPRIM_400000_NS6detail17trampoline_kernelINS0_14default_configENS1_22reduce_config_selectorI18summary_stats_dataIfEEEZNS1_11reduce_implILb1ES3_PS6_S9_S6_23summary_stats_binary_opIfEEE10hipError_tPvRmT1_T2_T3_mT4_P12ihipStream_tbEUlT_E0_NS1_11comp_targetILNS1_3genE10ELNS1_11target_archE1201ELNS1_3gpuE5ELNS1_3repE0EEENS1_30default_config_static_selectorELNS0_4arch9wavefront6targetE0EEEvSF_
	.globl	_ZN7rocprim17ROCPRIM_400000_NS6detail17trampoline_kernelINS0_14default_configENS1_22reduce_config_selectorI18summary_stats_dataIfEEEZNS1_11reduce_implILb1ES3_PS6_S9_S6_23summary_stats_binary_opIfEEE10hipError_tPvRmT1_T2_T3_mT4_P12ihipStream_tbEUlT_E0_NS1_11comp_targetILNS1_3genE10ELNS1_11target_archE1201ELNS1_3gpuE5ELNS1_3repE0EEENS1_30default_config_static_selectorELNS0_4arch9wavefront6targetE0EEEvSF_
	.p2align	8
	.type	_ZN7rocprim17ROCPRIM_400000_NS6detail17trampoline_kernelINS0_14default_configENS1_22reduce_config_selectorI18summary_stats_dataIfEEEZNS1_11reduce_implILb1ES3_PS6_S9_S6_23summary_stats_binary_opIfEEE10hipError_tPvRmT1_T2_T3_mT4_P12ihipStream_tbEUlT_E0_NS1_11comp_targetILNS1_3genE10ELNS1_11target_archE1201ELNS1_3gpuE5ELNS1_3repE0EEENS1_30default_config_static_selectorELNS0_4arch9wavefront6targetE0EEEvSF_,@function
_ZN7rocprim17ROCPRIM_400000_NS6detail17trampoline_kernelINS0_14default_configENS1_22reduce_config_selectorI18summary_stats_dataIfEEEZNS1_11reduce_implILb1ES3_PS6_S9_S6_23summary_stats_binary_opIfEEE10hipError_tPvRmT1_T2_T3_mT4_P12ihipStream_tbEUlT_E0_NS1_11comp_targetILNS1_3genE10ELNS1_11target_archE1201ELNS1_3gpuE5ELNS1_3repE0EEENS1_30default_config_static_selectorELNS0_4arch9wavefront6targetE0EEEvSF_: ; @_ZN7rocprim17ROCPRIM_400000_NS6detail17trampoline_kernelINS0_14default_configENS1_22reduce_config_selectorI18summary_stats_dataIfEEEZNS1_11reduce_implILb1ES3_PS6_S9_S6_23summary_stats_binary_opIfEEE10hipError_tPvRmT1_T2_T3_mT4_P12ihipStream_tbEUlT_E0_NS1_11comp_targetILNS1_3genE10ELNS1_11target_archE1201ELNS1_3gpuE5ELNS1_3repE0EEENS1_30default_config_static_selectorELNS0_4arch9wavefront6targetE0EEEvSF_
; %bb.0:
	.section	.rodata,"a",@progbits
	.p2align	6, 0x0
	.amdhsa_kernel _ZN7rocprim17ROCPRIM_400000_NS6detail17trampoline_kernelINS0_14default_configENS1_22reduce_config_selectorI18summary_stats_dataIfEEEZNS1_11reduce_implILb1ES3_PS6_S9_S6_23summary_stats_binary_opIfEEE10hipError_tPvRmT1_T2_T3_mT4_P12ihipStream_tbEUlT_E0_NS1_11comp_targetILNS1_3genE10ELNS1_11target_archE1201ELNS1_3gpuE5ELNS1_3repE0EEENS1_30default_config_static_selectorELNS0_4arch9wavefront6targetE0EEEvSF_
		.amdhsa_group_segment_fixed_size 0
		.amdhsa_private_segment_fixed_size 0
		.amdhsa_kernarg_size 80
		.amdhsa_user_sgpr_count 2
		.amdhsa_user_sgpr_dispatch_ptr 0
		.amdhsa_user_sgpr_queue_ptr 0
		.amdhsa_user_sgpr_kernarg_segment_ptr 1
		.amdhsa_user_sgpr_dispatch_id 0
		.amdhsa_user_sgpr_kernarg_preload_length 0
		.amdhsa_user_sgpr_kernarg_preload_offset 0
		.amdhsa_user_sgpr_private_segment_size 0
		.amdhsa_wavefront_size32 1
		.amdhsa_uses_dynamic_stack 0
		.amdhsa_enable_private_segment 0
		.amdhsa_system_sgpr_workgroup_id_x 1
		.amdhsa_system_sgpr_workgroup_id_y 0
		.amdhsa_system_sgpr_workgroup_id_z 0
		.amdhsa_system_sgpr_workgroup_info 0
		.amdhsa_system_vgpr_workitem_id 0
		.amdhsa_next_free_vgpr 1
		.amdhsa_next_free_sgpr 1
		.amdhsa_named_barrier_count 0
		.amdhsa_reserve_vcc 0
		.amdhsa_float_round_mode_32 0
		.amdhsa_float_round_mode_16_64 0
		.amdhsa_float_denorm_mode_32 3
		.amdhsa_float_denorm_mode_16_64 3
		.amdhsa_fp16_overflow 0
		.amdhsa_memory_ordered 1
		.amdhsa_forward_progress 1
		.amdhsa_inst_pref_size 0
		.amdhsa_round_robin_scheduling 0
		.amdhsa_exception_fp_ieee_invalid_op 0
		.amdhsa_exception_fp_denorm_src 0
		.amdhsa_exception_fp_ieee_div_zero 0
		.amdhsa_exception_fp_ieee_overflow 0
		.amdhsa_exception_fp_ieee_underflow 0
		.amdhsa_exception_fp_ieee_inexact 0
		.amdhsa_exception_int_div_zero 0
	.end_amdhsa_kernel
	.section	.text._ZN7rocprim17ROCPRIM_400000_NS6detail17trampoline_kernelINS0_14default_configENS1_22reduce_config_selectorI18summary_stats_dataIfEEEZNS1_11reduce_implILb1ES3_PS6_S9_S6_23summary_stats_binary_opIfEEE10hipError_tPvRmT1_T2_T3_mT4_P12ihipStream_tbEUlT_E0_NS1_11comp_targetILNS1_3genE10ELNS1_11target_archE1201ELNS1_3gpuE5ELNS1_3repE0EEENS1_30default_config_static_selectorELNS0_4arch9wavefront6targetE0EEEvSF_,"axG",@progbits,_ZN7rocprim17ROCPRIM_400000_NS6detail17trampoline_kernelINS0_14default_configENS1_22reduce_config_selectorI18summary_stats_dataIfEEEZNS1_11reduce_implILb1ES3_PS6_S9_S6_23summary_stats_binary_opIfEEE10hipError_tPvRmT1_T2_T3_mT4_P12ihipStream_tbEUlT_E0_NS1_11comp_targetILNS1_3genE10ELNS1_11target_archE1201ELNS1_3gpuE5ELNS1_3repE0EEENS1_30default_config_static_selectorELNS0_4arch9wavefront6targetE0EEEvSF_,comdat
.Lfunc_end5:
	.size	_ZN7rocprim17ROCPRIM_400000_NS6detail17trampoline_kernelINS0_14default_configENS1_22reduce_config_selectorI18summary_stats_dataIfEEEZNS1_11reduce_implILb1ES3_PS6_S9_S6_23summary_stats_binary_opIfEEE10hipError_tPvRmT1_T2_T3_mT4_P12ihipStream_tbEUlT_E0_NS1_11comp_targetILNS1_3genE10ELNS1_11target_archE1201ELNS1_3gpuE5ELNS1_3repE0EEENS1_30default_config_static_selectorELNS0_4arch9wavefront6targetE0EEEvSF_, .Lfunc_end5-_ZN7rocprim17ROCPRIM_400000_NS6detail17trampoline_kernelINS0_14default_configENS1_22reduce_config_selectorI18summary_stats_dataIfEEEZNS1_11reduce_implILb1ES3_PS6_S9_S6_23summary_stats_binary_opIfEEE10hipError_tPvRmT1_T2_T3_mT4_P12ihipStream_tbEUlT_E0_NS1_11comp_targetILNS1_3genE10ELNS1_11target_archE1201ELNS1_3gpuE5ELNS1_3repE0EEENS1_30default_config_static_selectorELNS0_4arch9wavefront6targetE0EEEvSF_
                                        ; -- End function
	.set _ZN7rocprim17ROCPRIM_400000_NS6detail17trampoline_kernelINS0_14default_configENS1_22reduce_config_selectorI18summary_stats_dataIfEEEZNS1_11reduce_implILb1ES3_PS6_S9_S6_23summary_stats_binary_opIfEEE10hipError_tPvRmT1_T2_T3_mT4_P12ihipStream_tbEUlT_E0_NS1_11comp_targetILNS1_3genE10ELNS1_11target_archE1201ELNS1_3gpuE5ELNS1_3repE0EEENS1_30default_config_static_selectorELNS0_4arch9wavefront6targetE0EEEvSF_.num_vgpr, 0
	.set _ZN7rocprim17ROCPRIM_400000_NS6detail17trampoline_kernelINS0_14default_configENS1_22reduce_config_selectorI18summary_stats_dataIfEEEZNS1_11reduce_implILb1ES3_PS6_S9_S6_23summary_stats_binary_opIfEEE10hipError_tPvRmT1_T2_T3_mT4_P12ihipStream_tbEUlT_E0_NS1_11comp_targetILNS1_3genE10ELNS1_11target_archE1201ELNS1_3gpuE5ELNS1_3repE0EEENS1_30default_config_static_selectorELNS0_4arch9wavefront6targetE0EEEvSF_.num_agpr, 0
	.set _ZN7rocprim17ROCPRIM_400000_NS6detail17trampoline_kernelINS0_14default_configENS1_22reduce_config_selectorI18summary_stats_dataIfEEEZNS1_11reduce_implILb1ES3_PS6_S9_S6_23summary_stats_binary_opIfEEE10hipError_tPvRmT1_T2_T3_mT4_P12ihipStream_tbEUlT_E0_NS1_11comp_targetILNS1_3genE10ELNS1_11target_archE1201ELNS1_3gpuE5ELNS1_3repE0EEENS1_30default_config_static_selectorELNS0_4arch9wavefront6targetE0EEEvSF_.numbered_sgpr, 0
	.set _ZN7rocprim17ROCPRIM_400000_NS6detail17trampoline_kernelINS0_14default_configENS1_22reduce_config_selectorI18summary_stats_dataIfEEEZNS1_11reduce_implILb1ES3_PS6_S9_S6_23summary_stats_binary_opIfEEE10hipError_tPvRmT1_T2_T3_mT4_P12ihipStream_tbEUlT_E0_NS1_11comp_targetILNS1_3genE10ELNS1_11target_archE1201ELNS1_3gpuE5ELNS1_3repE0EEENS1_30default_config_static_selectorELNS0_4arch9wavefront6targetE0EEEvSF_.num_named_barrier, 0
	.set _ZN7rocprim17ROCPRIM_400000_NS6detail17trampoline_kernelINS0_14default_configENS1_22reduce_config_selectorI18summary_stats_dataIfEEEZNS1_11reduce_implILb1ES3_PS6_S9_S6_23summary_stats_binary_opIfEEE10hipError_tPvRmT1_T2_T3_mT4_P12ihipStream_tbEUlT_E0_NS1_11comp_targetILNS1_3genE10ELNS1_11target_archE1201ELNS1_3gpuE5ELNS1_3repE0EEENS1_30default_config_static_selectorELNS0_4arch9wavefront6targetE0EEEvSF_.private_seg_size, 0
	.set _ZN7rocprim17ROCPRIM_400000_NS6detail17trampoline_kernelINS0_14default_configENS1_22reduce_config_selectorI18summary_stats_dataIfEEEZNS1_11reduce_implILb1ES3_PS6_S9_S6_23summary_stats_binary_opIfEEE10hipError_tPvRmT1_T2_T3_mT4_P12ihipStream_tbEUlT_E0_NS1_11comp_targetILNS1_3genE10ELNS1_11target_archE1201ELNS1_3gpuE5ELNS1_3repE0EEENS1_30default_config_static_selectorELNS0_4arch9wavefront6targetE0EEEvSF_.uses_vcc, 0
	.set _ZN7rocprim17ROCPRIM_400000_NS6detail17trampoline_kernelINS0_14default_configENS1_22reduce_config_selectorI18summary_stats_dataIfEEEZNS1_11reduce_implILb1ES3_PS6_S9_S6_23summary_stats_binary_opIfEEE10hipError_tPvRmT1_T2_T3_mT4_P12ihipStream_tbEUlT_E0_NS1_11comp_targetILNS1_3genE10ELNS1_11target_archE1201ELNS1_3gpuE5ELNS1_3repE0EEENS1_30default_config_static_selectorELNS0_4arch9wavefront6targetE0EEEvSF_.uses_flat_scratch, 0
	.set _ZN7rocprim17ROCPRIM_400000_NS6detail17trampoline_kernelINS0_14default_configENS1_22reduce_config_selectorI18summary_stats_dataIfEEEZNS1_11reduce_implILb1ES3_PS6_S9_S6_23summary_stats_binary_opIfEEE10hipError_tPvRmT1_T2_T3_mT4_P12ihipStream_tbEUlT_E0_NS1_11comp_targetILNS1_3genE10ELNS1_11target_archE1201ELNS1_3gpuE5ELNS1_3repE0EEENS1_30default_config_static_selectorELNS0_4arch9wavefront6targetE0EEEvSF_.has_dyn_sized_stack, 0
	.set _ZN7rocprim17ROCPRIM_400000_NS6detail17trampoline_kernelINS0_14default_configENS1_22reduce_config_selectorI18summary_stats_dataIfEEEZNS1_11reduce_implILb1ES3_PS6_S9_S6_23summary_stats_binary_opIfEEE10hipError_tPvRmT1_T2_T3_mT4_P12ihipStream_tbEUlT_E0_NS1_11comp_targetILNS1_3genE10ELNS1_11target_archE1201ELNS1_3gpuE5ELNS1_3repE0EEENS1_30default_config_static_selectorELNS0_4arch9wavefront6targetE0EEEvSF_.has_recursion, 0
	.set _ZN7rocprim17ROCPRIM_400000_NS6detail17trampoline_kernelINS0_14default_configENS1_22reduce_config_selectorI18summary_stats_dataIfEEEZNS1_11reduce_implILb1ES3_PS6_S9_S6_23summary_stats_binary_opIfEEE10hipError_tPvRmT1_T2_T3_mT4_P12ihipStream_tbEUlT_E0_NS1_11comp_targetILNS1_3genE10ELNS1_11target_archE1201ELNS1_3gpuE5ELNS1_3repE0EEENS1_30default_config_static_selectorELNS0_4arch9wavefront6targetE0EEEvSF_.has_indirect_call, 0
	.section	.AMDGPU.csdata,"",@progbits
; Kernel info:
; codeLenInByte = 0
; TotalNumSgprs: 0
; NumVgprs: 0
; ScratchSize: 0
; MemoryBound: 0
; FloatMode: 240
; IeeeMode: 1
; LDSByteSize: 0 bytes/workgroup (compile time only)
; SGPRBlocks: 0
; VGPRBlocks: 0
; NumSGPRsForWavesPerEU: 1
; NumVGPRsForWavesPerEU: 1
; NamedBarCnt: 0
; Occupancy: 16
; WaveLimiterHint : 0
; COMPUTE_PGM_RSRC2:SCRATCH_EN: 0
; COMPUTE_PGM_RSRC2:USER_SGPR: 2
; COMPUTE_PGM_RSRC2:TRAP_HANDLER: 0
; COMPUTE_PGM_RSRC2:TGID_X_EN: 1
; COMPUTE_PGM_RSRC2:TGID_Y_EN: 0
; COMPUTE_PGM_RSRC2:TGID_Z_EN: 0
; COMPUTE_PGM_RSRC2:TIDIG_COMP_CNT: 0
	.section	.text._ZN7rocprim17ROCPRIM_400000_NS6detail17trampoline_kernelINS0_14default_configENS1_22reduce_config_selectorI18summary_stats_dataIfEEEZNS1_11reduce_implILb1ES3_PS6_S9_S6_23summary_stats_binary_opIfEEE10hipError_tPvRmT1_T2_T3_mT4_P12ihipStream_tbEUlT_E0_NS1_11comp_targetILNS1_3genE10ELNS1_11target_archE1200ELNS1_3gpuE4ELNS1_3repE0EEENS1_30default_config_static_selectorELNS0_4arch9wavefront6targetE0EEEvSF_,"axG",@progbits,_ZN7rocprim17ROCPRIM_400000_NS6detail17trampoline_kernelINS0_14default_configENS1_22reduce_config_selectorI18summary_stats_dataIfEEEZNS1_11reduce_implILb1ES3_PS6_S9_S6_23summary_stats_binary_opIfEEE10hipError_tPvRmT1_T2_T3_mT4_P12ihipStream_tbEUlT_E0_NS1_11comp_targetILNS1_3genE10ELNS1_11target_archE1200ELNS1_3gpuE4ELNS1_3repE0EEENS1_30default_config_static_selectorELNS0_4arch9wavefront6targetE0EEEvSF_,comdat
	.protected	_ZN7rocprim17ROCPRIM_400000_NS6detail17trampoline_kernelINS0_14default_configENS1_22reduce_config_selectorI18summary_stats_dataIfEEEZNS1_11reduce_implILb1ES3_PS6_S9_S6_23summary_stats_binary_opIfEEE10hipError_tPvRmT1_T2_T3_mT4_P12ihipStream_tbEUlT_E0_NS1_11comp_targetILNS1_3genE10ELNS1_11target_archE1200ELNS1_3gpuE4ELNS1_3repE0EEENS1_30default_config_static_selectorELNS0_4arch9wavefront6targetE0EEEvSF_ ; -- Begin function _ZN7rocprim17ROCPRIM_400000_NS6detail17trampoline_kernelINS0_14default_configENS1_22reduce_config_selectorI18summary_stats_dataIfEEEZNS1_11reduce_implILb1ES3_PS6_S9_S6_23summary_stats_binary_opIfEEE10hipError_tPvRmT1_T2_T3_mT4_P12ihipStream_tbEUlT_E0_NS1_11comp_targetILNS1_3genE10ELNS1_11target_archE1200ELNS1_3gpuE4ELNS1_3repE0EEENS1_30default_config_static_selectorELNS0_4arch9wavefront6targetE0EEEvSF_
	.globl	_ZN7rocprim17ROCPRIM_400000_NS6detail17trampoline_kernelINS0_14default_configENS1_22reduce_config_selectorI18summary_stats_dataIfEEEZNS1_11reduce_implILb1ES3_PS6_S9_S6_23summary_stats_binary_opIfEEE10hipError_tPvRmT1_T2_T3_mT4_P12ihipStream_tbEUlT_E0_NS1_11comp_targetILNS1_3genE10ELNS1_11target_archE1200ELNS1_3gpuE4ELNS1_3repE0EEENS1_30default_config_static_selectorELNS0_4arch9wavefront6targetE0EEEvSF_
	.p2align	8
	.type	_ZN7rocprim17ROCPRIM_400000_NS6detail17trampoline_kernelINS0_14default_configENS1_22reduce_config_selectorI18summary_stats_dataIfEEEZNS1_11reduce_implILb1ES3_PS6_S9_S6_23summary_stats_binary_opIfEEE10hipError_tPvRmT1_T2_T3_mT4_P12ihipStream_tbEUlT_E0_NS1_11comp_targetILNS1_3genE10ELNS1_11target_archE1200ELNS1_3gpuE4ELNS1_3repE0EEENS1_30default_config_static_selectorELNS0_4arch9wavefront6targetE0EEEvSF_,@function
_ZN7rocprim17ROCPRIM_400000_NS6detail17trampoline_kernelINS0_14default_configENS1_22reduce_config_selectorI18summary_stats_dataIfEEEZNS1_11reduce_implILb1ES3_PS6_S9_S6_23summary_stats_binary_opIfEEE10hipError_tPvRmT1_T2_T3_mT4_P12ihipStream_tbEUlT_E0_NS1_11comp_targetILNS1_3genE10ELNS1_11target_archE1200ELNS1_3gpuE4ELNS1_3repE0EEENS1_30default_config_static_selectorELNS0_4arch9wavefront6targetE0EEEvSF_: ; @_ZN7rocprim17ROCPRIM_400000_NS6detail17trampoline_kernelINS0_14default_configENS1_22reduce_config_selectorI18summary_stats_dataIfEEEZNS1_11reduce_implILb1ES3_PS6_S9_S6_23summary_stats_binary_opIfEEE10hipError_tPvRmT1_T2_T3_mT4_P12ihipStream_tbEUlT_E0_NS1_11comp_targetILNS1_3genE10ELNS1_11target_archE1200ELNS1_3gpuE4ELNS1_3repE0EEENS1_30default_config_static_selectorELNS0_4arch9wavefront6targetE0EEEvSF_
; %bb.0:
	.section	.rodata,"a",@progbits
	.p2align	6, 0x0
	.amdhsa_kernel _ZN7rocprim17ROCPRIM_400000_NS6detail17trampoline_kernelINS0_14default_configENS1_22reduce_config_selectorI18summary_stats_dataIfEEEZNS1_11reduce_implILb1ES3_PS6_S9_S6_23summary_stats_binary_opIfEEE10hipError_tPvRmT1_T2_T3_mT4_P12ihipStream_tbEUlT_E0_NS1_11comp_targetILNS1_3genE10ELNS1_11target_archE1200ELNS1_3gpuE4ELNS1_3repE0EEENS1_30default_config_static_selectorELNS0_4arch9wavefront6targetE0EEEvSF_
		.amdhsa_group_segment_fixed_size 0
		.amdhsa_private_segment_fixed_size 0
		.amdhsa_kernarg_size 80
		.amdhsa_user_sgpr_count 2
		.amdhsa_user_sgpr_dispatch_ptr 0
		.amdhsa_user_sgpr_queue_ptr 0
		.amdhsa_user_sgpr_kernarg_segment_ptr 1
		.amdhsa_user_sgpr_dispatch_id 0
		.amdhsa_user_sgpr_kernarg_preload_length 0
		.amdhsa_user_sgpr_kernarg_preload_offset 0
		.amdhsa_user_sgpr_private_segment_size 0
		.amdhsa_wavefront_size32 1
		.amdhsa_uses_dynamic_stack 0
		.amdhsa_enable_private_segment 0
		.amdhsa_system_sgpr_workgroup_id_x 1
		.amdhsa_system_sgpr_workgroup_id_y 0
		.amdhsa_system_sgpr_workgroup_id_z 0
		.amdhsa_system_sgpr_workgroup_info 0
		.amdhsa_system_vgpr_workitem_id 0
		.amdhsa_next_free_vgpr 1
		.amdhsa_next_free_sgpr 1
		.amdhsa_named_barrier_count 0
		.amdhsa_reserve_vcc 0
		.amdhsa_float_round_mode_32 0
		.amdhsa_float_round_mode_16_64 0
		.amdhsa_float_denorm_mode_32 3
		.amdhsa_float_denorm_mode_16_64 3
		.amdhsa_fp16_overflow 0
		.amdhsa_memory_ordered 1
		.amdhsa_forward_progress 1
		.amdhsa_inst_pref_size 0
		.amdhsa_round_robin_scheduling 0
		.amdhsa_exception_fp_ieee_invalid_op 0
		.amdhsa_exception_fp_denorm_src 0
		.amdhsa_exception_fp_ieee_div_zero 0
		.amdhsa_exception_fp_ieee_overflow 0
		.amdhsa_exception_fp_ieee_underflow 0
		.amdhsa_exception_fp_ieee_inexact 0
		.amdhsa_exception_int_div_zero 0
	.end_amdhsa_kernel
	.section	.text._ZN7rocprim17ROCPRIM_400000_NS6detail17trampoline_kernelINS0_14default_configENS1_22reduce_config_selectorI18summary_stats_dataIfEEEZNS1_11reduce_implILb1ES3_PS6_S9_S6_23summary_stats_binary_opIfEEE10hipError_tPvRmT1_T2_T3_mT4_P12ihipStream_tbEUlT_E0_NS1_11comp_targetILNS1_3genE10ELNS1_11target_archE1200ELNS1_3gpuE4ELNS1_3repE0EEENS1_30default_config_static_selectorELNS0_4arch9wavefront6targetE0EEEvSF_,"axG",@progbits,_ZN7rocprim17ROCPRIM_400000_NS6detail17trampoline_kernelINS0_14default_configENS1_22reduce_config_selectorI18summary_stats_dataIfEEEZNS1_11reduce_implILb1ES3_PS6_S9_S6_23summary_stats_binary_opIfEEE10hipError_tPvRmT1_T2_T3_mT4_P12ihipStream_tbEUlT_E0_NS1_11comp_targetILNS1_3genE10ELNS1_11target_archE1200ELNS1_3gpuE4ELNS1_3repE0EEENS1_30default_config_static_selectorELNS0_4arch9wavefront6targetE0EEEvSF_,comdat
.Lfunc_end6:
	.size	_ZN7rocprim17ROCPRIM_400000_NS6detail17trampoline_kernelINS0_14default_configENS1_22reduce_config_selectorI18summary_stats_dataIfEEEZNS1_11reduce_implILb1ES3_PS6_S9_S6_23summary_stats_binary_opIfEEE10hipError_tPvRmT1_T2_T3_mT4_P12ihipStream_tbEUlT_E0_NS1_11comp_targetILNS1_3genE10ELNS1_11target_archE1200ELNS1_3gpuE4ELNS1_3repE0EEENS1_30default_config_static_selectorELNS0_4arch9wavefront6targetE0EEEvSF_, .Lfunc_end6-_ZN7rocprim17ROCPRIM_400000_NS6detail17trampoline_kernelINS0_14default_configENS1_22reduce_config_selectorI18summary_stats_dataIfEEEZNS1_11reduce_implILb1ES3_PS6_S9_S6_23summary_stats_binary_opIfEEE10hipError_tPvRmT1_T2_T3_mT4_P12ihipStream_tbEUlT_E0_NS1_11comp_targetILNS1_3genE10ELNS1_11target_archE1200ELNS1_3gpuE4ELNS1_3repE0EEENS1_30default_config_static_selectorELNS0_4arch9wavefront6targetE0EEEvSF_
                                        ; -- End function
	.set _ZN7rocprim17ROCPRIM_400000_NS6detail17trampoline_kernelINS0_14default_configENS1_22reduce_config_selectorI18summary_stats_dataIfEEEZNS1_11reduce_implILb1ES3_PS6_S9_S6_23summary_stats_binary_opIfEEE10hipError_tPvRmT1_T2_T3_mT4_P12ihipStream_tbEUlT_E0_NS1_11comp_targetILNS1_3genE10ELNS1_11target_archE1200ELNS1_3gpuE4ELNS1_3repE0EEENS1_30default_config_static_selectorELNS0_4arch9wavefront6targetE0EEEvSF_.num_vgpr, 0
	.set _ZN7rocprim17ROCPRIM_400000_NS6detail17trampoline_kernelINS0_14default_configENS1_22reduce_config_selectorI18summary_stats_dataIfEEEZNS1_11reduce_implILb1ES3_PS6_S9_S6_23summary_stats_binary_opIfEEE10hipError_tPvRmT1_T2_T3_mT4_P12ihipStream_tbEUlT_E0_NS1_11comp_targetILNS1_3genE10ELNS1_11target_archE1200ELNS1_3gpuE4ELNS1_3repE0EEENS1_30default_config_static_selectorELNS0_4arch9wavefront6targetE0EEEvSF_.num_agpr, 0
	.set _ZN7rocprim17ROCPRIM_400000_NS6detail17trampoline_kernelINS0_14default_configENS1_22reduce_config_selectorI18summary_stats_dataIfEEEZNS1_11reduce_implILb1ES3_PS6_S9_S6_23summary_stats_binary_opIfEEE10hipError_tPvRmT1_T2_T3_mT4_P12ihipStream_tbEUlT_E0_NS1_11comp_targetILNS1_3genE10ELNS1_11target_archE1200ELNS1_3gpuE4ELNS1_3repE0EEENS1_30default_config_static_selectorELNS0_4arch9wavefront6targetE0EEEvSF_.numbered_sgpr, 0
	.set _ZN7rocprim17ROCPRIM_400000_NS6detail17trampoline_kernelINS0_14default_configENS1_22reduce_config_selectorI18summary_stats_dataIfEEEZNS1_11reduce_implILb1ES3_PS6_S9_S6_23summary_stats_binary_opIfEEE10hipError_tPvRmT1_T2_T3_mT4_P12ihipStream_tbEUlT_E0_NS1_11comp_targetILNS1_3genE10ELNS1_11target_archE1200ELNS1_3gpuE4ELNS1_3repE0EEENS1_30default_config_static_selectorELNS0_4arch9wavefront6targetE0EEEvSF_.num_named_barrier, 0
	.set _ZN7rocprim17ROCPRIM_400000_NS6detail17trampoline_kernelINS0_14default_configENS1_22reduce_config_selectorI18summary_stats_dataIfEEEZNS1_11reduce_implILb1ES3_PS6_S9_S6_23summary_stats_binary_opIfEEE10hipError_tPvRmT1_T2_T3_mT4_P12ihipStream_tbEUlT_E0_NS1_11comp_targetILNS1_3genE10ELNS1_11target_archE1200ELNS1_3gpuE4ELNS1_3repE0EEENS1_30default_config_static_selectorELNS0_4arch9wavefront6targetE0EEEvSF_.private_seg_size, 0
	.set _ZN7rocprim17ROCPRIM_400000_NS6detail17trampoline_kernelINS0_14default_configENS1_22reduce_config_selectorI18summary_stats_dataIfEEEZNS1_11reduce_implILb1ES3_PS6_S9_S6_23summary_stats_binary_opIfEEE10hipError_tPvRmT1_T2_T3_mT4_P12ihipStream_tbEUlT_E0_NS1_11comp_targetILNS1_3genE10ELNS1_11target_archE1200ELNS1_3gpuE4ELNS1_3repE0EEENS1_30default_config_static_selectorELNS0_4arch9wavefront6targetE0EEEvSF_.uses_vcc, 0
	.set _ZN7rocprim17ROCPRIM_400000_NS6detail17trampoline_kernelINS0_14default_configENS1_22reduce_config_selectorI18summary_stats_dataIfEEEZNS1_11reduce_implILb1ES3_PS6_S9_S6_23summary_stats_binary_opIfEEE10hipError_tPvRmT1_T2_T3_mT4_P12ihipStream_tbEUlT_E0_NS1_11comp_targetILNS1_3genE10ELNS1_11target_archE1200ELNS1_3gpuE4ELNS1_3repE0EEENS1_30default_config_static_selectorELNS0_4arch9wavefront6targetE0EEEvSF_.uses_flat_scratch, 0
	.set _ZN7rocprim17ROCPRIM_400000_NS6detail17trampoline_kernelINS0_14default_configENS1_22reduce_config_selectorI18summary_stats_dataIfEEEZNS1_11reduce_implILb1ES3_PS6_S9_S6_23summary_stats_binary_opIfEEE10hipError_tPvRmT1_T2_T3_mT4_P12ihipStream_tbEUlT_E0_NS1_11comp_targetILNS1_3genE10ELNS1_11target_archE1200ELNS1_3gpuE4ELNS1_3repE0EEENS1_30default_config_static_selectorELNS0_4arch9wavefront6targetE0EEEvSF_.has_dyn_sized_stack, 0
	.set _ZN7rocprim17ROCPRIM_400000_NS6detail17trampoline_kernelINS0_14default_configENS1_22reduce_config_selectorI18summary_stats_dataIfEEEZNS1_11reduce_implILb1ES3_PS6_S9_S6_23summary_stats_binary_opIfEEE10hipError_tPvRmT1_T2_T3_mT4_P12ihipStream_tbEUlT_E0_NS1_11comp_targetILNS1_3genE10ELNS1_11target_archE1200ELNS1_3gpuE4ELNS1_3repE0EEENS1_30default_config_static_selectorELNS0_4arch9wavefront6targetE0EEEvSF_.has_recursion, 0
	.set _ZN7rocprim17ROCPRIM_400000_NS6detail17trampoline_kernelINS0_14default_configENS1_22reduce_config_selectorI18summary_stats_dataIfEEEZNS1_11reduce_implILb1ES3_PS6_S9_S6_23summary_stats_binary_opIfEEE10hipError_tPvRmT1_T2_T3_mT4_P12ihipStream_tbEUlT_E0_NS1_11comp_targetILNS1_3genE10ELNS1_11target_archE1200ELNS1_3gpuE4ELNS1_3repE0EEENS1_30default_config_static_selectorELNS0_4arch9wavefront6targetE0EEEvSF_.has_indirect_call, 0
	.section	.AMDGPU.csdata,"",@progbits
; Kernel info:
; codeLenInByte = 0
; TotalNumSgprs: 0
; NumVgprs: 0
; ScratchSize: 0
; MemoryBound: 0
; FloatMode: 240
; IeeeMode: 1
; LDSByteSize: 0 bytes/workgroup (compile time only)
; SGPRBlocks: 0
; VGPRBlocks: 0
; NumSGPRsForWavesPerEU: 1
; NumVGPRsForWavesPerEU: 1
; NamedBarCnt: 0
; Occupancy: 16
; WaveLimiterHint : 0
; COMPUTE_PGM_RSRC2:SCRATCH_EN: 0
; COMPUTE_PGM_RSRC2:USER_SGPR: 2
; COMPUTE_PGM_RSRC2:TRAP_HANDLER: 0
; COMPUTE_PGM_RSRC2:TGID_X_EN: 1
; COMPUTE_PGM_RSRC2:TGID_Y_EN: 0
; COMPUTE_PGM_RSRC2:TGID_Z_EN: 0
; COMPUTE_PGM_RSRC2:TIDIG_COMP_CNT: 0
	.section	.text._ZN7rocprim17ROCPRIM_400000_NS6detail17trampoline_kernelINS0_14default_configENS1_22reduce_config_selectorI18summary_stats_dataIfEEEZNS1_11reduce_implILb1ES3_PS6_S9_S6_23summary_stats_binary_opIfEEE10hipError_tPvRmT1_T2_T3_mT4_P12ihipStream_tbEUlT_E0_NS1_11comp_targetILNS1_3genE9ELNS1_11target_archE1100ELNS1_3gpuE3ELNS1_3repE0EEENS1_30default_config_static_selectorELNS0_4arch9wavefront6targetE0EEEvSF_,"axG",@progbits,_ZN7rocprim17ROCPRIM_400000_NS6detail17trampoline_kernelINS0_14default_configENS1_22reduce_config_selectorI18summary_stats_dataIfEEEZNS1_11reduce_implILb1ES3_PS6_S9_S6_23summary_stats_binary_opIfEEE10hipError_tPvRmT1_T2_T3_mT4_P12ihipStream_tbEUlT_E0_NS1_11comp_targetILNS1_3genE9ELNS1_11target_archE1100ELNS1_3gpuE3ELNS1_3repE0EEENS1_30default_config_static_selectorELNS0_4arch9wavefront6targetE0EEEvSF_,comdat
	.protected	_ZN7rocprim17ROCPRIM_400000_NS6detail17trampoline_kernelINS0_14default_configENS1_22reduce_config_selectorI18summary_stats_dataIfEEEZNS1_11reduce_implILb1ES3_PS6_S9_S6_23summary_stats_binary_opIfEEE10hipError_tPvRmT1_T2_T3_mT4_P12ihipStream_tbEUlT_E0_NS1_11comp_targetILNS1_3genE9ELNS1_11target_archE1100ELNS1_3gpuE3ELNS1_3repE0EEENS1_30default_config_static_selectorELNS0_4arch9wavefront6targetE0EEEvSF_ ; -- Begin function _ZN7rocprim17ROCPRIM_400000_NS6detail17trampoline_kernelINS0_14default_configENS1_22reduce_config_selectorI18summary_stats_dataIfEEEZNS1_11reduce_implILb1ES3_PS6_S9_S6_23summary_stats_binary_opIfEEE10hipError_tPvRmT1_T2_T3_mT4_P12ihipStream_tbEUlT_E0_NS1_11comp_targetILNS1_3genE9ELNS1_11target_archE1100ELNS1_3gpuE3ELNS1_3repE0EEENS1_30default_config_static_selectorELNS0_4arch9wavefront6targetE0EEEvSF_
	.globl	_ZN7rocprim17ROCPRIM_400000_NS6detail17trampoline_kernelINS0_14default_configENS1_22reduce_config_selectorI18summary_stats_dataIfEEEZNS1_11reduce_implILb1ES3_PS6_S9_S6_23summary_stats_binary_opIfEEE10hipError_tPvRmT1_T2_T3_mT4_P12ihipStream_tbEUlT_E0_NS1_11comp_targetILNS1_3genE9ELNS1_11target_archE1100ELNS1_3gpuE3ELNS1_3repE0EEENS1_30default_config_static_selectorELNS0_4arch9wavefront6targetE0EEEvSF_
	.p2align	8
	.type	_ZN7rocprim17ROCPRIM_400000_NS6detail17trampoline_kernelINS0_14default_configENS1_22reduce_config_selectorI18summary_stats_dataIfEEEZNS1_11reduce_implILb1ES3_PS6_S9_S6_23summary_stats_binary_opIfEEE10hipError_tPvRmT1_T2_T3_mT4_P12ihipStream_tbEUlT_E0_NS1_11comp_targetILNS1_3genE9ELNS1_11target_archE1100ELNS1_3gpuE3ELNS1_3repE0EEENS1_30default_config_static_selectorELNS0_4arch9wavefront6targetE0EEEvSF_,@function
_ZN7rocprim17ROCPRIM_400000_NS6detail17trampoline_kernelINS0_14default_configENS1_22reduce_config_selectorI18summary_stats_dataIfEEEZNS1_11reduce_implILb1ES3_PS6_S9_S6_23summary_stats_binary_opIfEEE10hipError_tPvRmT1_T2_T3_mT4_P12ihipStream_tbEUlT_E0_NS1_11comp_targetILNS1_3genE9ELNS1_11target_archE1100ELNS1_3gpuE3ELNS1_3repE0EEENS1_30default_config_static_selectorELNS0_4arch9wavefront6targetE0EEEvSF_: ; @_ZN7rocprim17ROCPRIM_400000_NS6detail17trampoline_kernelINS0_14default_configENS1_22reduce_config_selectorI18summary_stats_dataIfEEEZNS1_11reduce_implILb1ES3_PS6_S9_S6_23summary_stats_binary_opIfEEE10hipError_tPvRmT1_T2_T3_mT4_P12ihipStream_tbEUlT_E0_NS1_11comp_targetILNS1_3genE9ELNS1_11target_archE1100ELNS1_3gpuE3ELNS1_3repE0EEENS1_30default_config_static_selectorELNS0_4arch9wavefront6targetE0EEEvSF_
; %bb.0:
	.section	.rodata,"a",@progbits
	.p2align	6, 0x0
	.amdhsa_kernel _ZN7rocprim17ROCPRIM_400000_NS6detail17trampoline_kernelINS0_14default_configENS1_22reduce_config_selectorI18summary_stats_dataIfEEEZNS1_11reduce_implILb1ES3_PS6_S9_S6_23summary_stats_binary_opIfEEE10hipError_tPvRmT1_T2_T3_mT4_P12ihipStream_tbEUlT_E0_NS1_11comp_targetILNS1_3genE9ELNS1_11target_archE1100ELNS1_3gpuE3ELNS1_3repE0EEENS1_30default_config_static_selectorELNS0_4arch9wavefront6targetE0EEEvSF_
		.amdhsa_group_segment_fixed_size 0
		.amdhsa_private_segment_fixed_size 0
		.amdhsa_kernarg_size 80
		.amdhsa_user_sgpr_count 2
		.amdhsa_user_sgpr_dispatch_ptr 0
		.amdhsa_user_sgpr_queue_ptr 0
		.amdhsa_user_sgpr_kernarg_segment_ptr 1
		.amdhsa_user_sgpr_dispatch_id 0
		.amdhsa_user_sgpr_kernarg_preload_length 0
		.amdhsa_user_sgpr_kernarg_preload_offset 0
		.amdhsa_user_sgpr_private_segment_size 0
		.amdhsa_wavefront_size32 1
		.amdhsa_uses_dynamic_stack 0
		.amdhsa_enable_private_segment 0
		.amdhsa_system_sgpr_workgroup_id_x 1
		.amdhsa_system_sgpr_workgroup_id_y 0
		.amdhsa_system_sgpr_workgroup_id_z 0
		.amdhsa_system_sgpr_workgroup_info 0
		.amdhsa_system_vgpr_workitem_id 0
		.amdhsa_next_free_vgpr 1
		.amdhsa_next_free_sgpr 1
		.amdhsa_named_barrier_count 0
		.amdhsa_reserve_vcc 0
		.amdhsa_float_round_mode_32 0
		.amdhsa_float_round_mode_16_64 0
		.amdhsa_float_denorm_mode_32 3
		.amdhsa_float_denorm_mode_16_64 3
		.amdhsa_fp16_overflow 0
		.amdhsa_memory_ordered 1
		.amdhsa_forward_progress 1
		.amdhsa_inst_pref_size 0
		.amdhsa_round_robin_scheduling 0
		.amdhsa_exception_fp_ieee_invalid_op 0
		.amdhsa_exception_fp_denorm_src 0
		.amdhsa_exception_fp_ieee_div_zero 0
		.amdhsa_exception_fp_ieee_overflow 0
		.amdhsa_exception_fp_ieee_underflow 0
		.amdhsa_exception_fp_ieee_inexact 0
		.amdhsa_exception_int_div_zero 0
	.end_amdhsa_kernel
	.section	.text._ZN7rocprim17ROCPRIM_400000_NS6detail17trampoline_kernelINS0_14default_configENS1_22reduce_config_selectorI18summary_stats_dataIfEEEZNS1_11reduce_implILb1ES3_PS6_S9_S6_23summary_stats_binary_opIfEEE10hipError_tPvRmT1_T2_T3_mT4_P12ihipStream_tbEUlT_E0_NS1_11comp_targetILNS1_3genE9ELNS1_11target_archE1100ELNS1_3gpuE3ELNS1_3repE0EEENS1_30default_config_static_selectorELNS0_4arch9wavefront6targetE0EEEvSF_,"axG",@progbits,_ZN7rocprim17ROCPRIM_400000_NS6detail17trampoline_kernelINS0_14default_configENS1_22reduce_config_selectorI18summary_stats_dataIfEEEZNS1_11reduce_implILb1ES3_PS6_S9_S6_23summary_stats_binary_opIfEEE10hipError_tPvRmT1_T2_T3_mT4_P12ihipStream_tbEUlT_E0_NS1_11comp_targetILNS1_3genE9ELNS1_11target_archE1100ELNS1_3gpuE3ELNS1_3repE0EEENS1_30default_config_static_selectorELNS0_4arch9wavefront6targetE0EEEvSF_,comdat
.Lfunc_end7:
	.size	_ZN7rocprim17ROCPRIM_400000_NS6detail17trampoline_kernelINS0_14default_configENS1_22reduce_config_selectorI18summary_stats_dataIfEEEZNS1_11reduce_implILb1ES3_PS6_S9_S6_23summary_stats_binary_opIfEEE10hipError_tPvRmT1_T2_T3_mT4_P12ihipStream_tbEUlT_E0_NS1_11comp_targetILNS1_3genE9ELNS1_11target_archE1100ELNS1_3gpuE3ELNS1_3repE0EEENS1_30default_config_static_selectorELNS0_4arch9wavefront6targetE0EEEvSF_, .Lfunc_end7-_ZN7rocprim17ROCPRIM_400000_NS6detail17trampoline_kernelINS0_14default_configENS1_22reduce_config_selectorI18summary_stats_dataIfEEEZNS1_11reduce_implILb1ES3_PS6_S9_S6_23summary_stats_binary_opIfEEE10hipError_tPvRmT1_T2_T3_mT4_P12ihipStream_tbEUlT_E0_NS1_11comp_targetILNS1_3genE9ELNS1_11target_archE1100ELNS1_3gpuE3ELNS1_3repE0EEENS1_30default_config_static_selectorELNS0_4arch9wavefront6targetE0EEEvSF_
                                        ; -- End function
	.set _ZN7rocprim17ROCPRIM_400000_NS6detail17trampoline_kernelINS0_14default_configENS1_22reduce_config_selectorI18summary_stats_dataIfEEEZNS1_11reduce_implILb1ES3_PS6_S9_S6_23summary_stats_binary_opIfEEE10hipError_tPvRmT1_T2_T3_mT4_P12ihipStream_tbEUlT_E0_NS1_11comp_targetILNS1_3genE9ELNS1_11target_archE1100ELNS1_3gpuE3ELNS1_3repE0EEENS1_30default_config_static_selectorELNS0_4arch9wavefront6targetE0EEEvSF_.num_vgpr, 0
	.set _ZN7rocprim17ROCPRIM_400000_NS6detail17trampoline_kernelINS0_14default_configENS1_22reduce_config_selectorI18summary_stats_dataIfEEEZNS1_11reduce_implILb1ES3_PS6_S9_S6_23summary_stats_binary_opIfEEE10hipError_tPvRmT1_T2_T3_mT4_P12ihipStream_tbEUlT_E0_NS1_11comp_targetILNS1_3genE9ELNS1_11target_archE1100ELNS1_3gpuE3ELNS1_3repE0EEENS1_30default_config_static_selectorELNS0_4arch9wavefront6targetE0EEEvSF_.num_agpr, 0
	.set _ZN7rocprim17ROCPRIM_400000_NS6detail17trampoline_kernelINS0_14default_configENS1_22reduce_config_selectorI18summary_stats_dataIfEEEZNS1_11reduce_implILb1ES3_PS6_S9_S6_23summary_stats_binary_opIfEEE10hipError_tPvRmT1_T2_T3_mT4_P12ihipStream_tbEUlT_E0_NS1_11comp_targetILNS1_3genE9ELNS1_11target_archE1100ELNS1_3gpuE3ELNS1_3repE0EEENS1_30default_config_static_selectorELNS0_4arch9wavefront6targetE0EEEvSF_.numbered_sgpr, 0
	.set _ZN7rocprim17ROCPRIM_400000_NS6detail17trampoline_kernelINS0_14default_configENS1_22reduce_config_selectorI18summary_stats_dataIfEEEZNS1_11reduce_implILb1ES3_PS6_S9_S6_23summary_stats_binary_opIfEEE10hipError_tPvRmT1_T2_T3_mT4_P12ihipStream_tbEUlT_E0_NS1_11comp_targetILNS1_3genE9ELNS1_11target_archE1100ELNS1_3gpuE3ELNS1_3repE0EEENS1_30default_config_static_selectorELNS0_4arch9wavefront6targetE0EEEvSF_.num_named_barrier, 0
	.set _ZN7rocprim17ROCPRIM_400000_NS6detail17trampoline_kernelINS0_14default_configENS1_22reduce_config_selectorI18summary_stats_dataIfEEEZNS1_11reduce_implILb1ES3_PS6_S9_S6_23summary_stats_binary_opIfEEE10hipError_tPvRmT1_T2_T3_mT4_P12ihipStream_tbEUlT_E0_NS1_11comp_targetILNS1_3genE9ELNS1_11target_archE1100ELNS1_3gpuE3ELNS1_3repE0EEENS1_30default_config_static_selectorELNS0_4arch9wavefront6targetE0EEEvSF_.private_seg_size, 0
	.set _ZN7rocprim17ROCPRIM_400000_NS6detail17trampoline_kernelINS0_14default_configENS1_22reduce_config_selectorI18summary_stats_dataIfEEEZNS1_11reduce_implILb1ES3_PS6_S9_S6_23summary_stats_binary_opIfEEE10hipError_tPvRmT1_T2_T3_mT4_P12ihipStream_tbEUlT_E0_NS1_11comp_targetILNS1_3genE9ELNS1_11target_archE1100ELNS1_3gpuE3ELNS1_3repE0EEENS1_30default_config_static_selectorELNS0_4arch9wavefront6targetE0EEEvSF_.uses_vcc, 0
	.set _ZN7rocprim17ROCPRIM_400000_NS6detail17trampoline_kernelINS0_14default_configENS1_22reduce_config_selectorI18summary_stats_dataIfEEEZNS1_11reduce_implILb1ES3_PS6_S9_S6_23summary_stats_binary_opIfEEE10hipError_tPvRmT1_T2_T3_mT4_P12ihipStream_tbEUlT_E0_NS1_11comp_targetILNS1_3genE9ELNS1_11target_archE1100ELNS1_3gpuE3ELNS1_3repE0EEENS1_30default_config_static_selectorELNS0_4arch9wavefront6targetE0EEEvSF_.uses_flat_scratch, 0
	.set _ZN7rocprim17ROCPRIM_400000_NS6detail17trampoline_kernelINS0_14default_configENS1_22reduce_config_selectorI18summary_stats_dataIfEEEZNS1_11reduce_implILb1ES3_PS6_S9_S6_23summary_stats_binary_opIfEEE10hipError_tPvRmT1_T2_T3_mT4_P12ihipStream_tbEUlT_E0_NS1_11comp_targetILNS1_3genE9ELNS1_11target_archE1100ELNS1_3gpuE3ELNS1_3repE0EEENS1_30default_config_static_selectorELNS0_4arch9wavefront6targetE0EEEvSF_.has_dyn_sized_stack, 0
	.set _ZN7rocprim17ROCPRIM_400000_NS6detail17trampoline_kernelINS0_14default_configENS1_22reduce_config_selectorI18summary_stats_dataIfEEEZNS1_11reduce_implILb1ES3_PS6_S9_S6_23summary_stats_binary_opIfEEE10hipError_tPvRmT1_T2_T3_mT4_P12ihipStream_tbEUlT_E0_NS1_11comp_targetILNS1_3genE9ELNS1_11target_archE1100ELNS1_3gpuE3ELNS1_3repE0EEENS1_30default_config_static_selectorELNS0_4arch9wavefront6targetE0EEEvSF_.has_recursion, 0
	.set _ZN7rocprim17ROCPRIM_400000_NS6detail17trampoline_kernelINS0_14default_configENS1_22reduce_config_selectorI18summary_stats_dataIfEEEZNS1_11reduce_implILb1ES3_PS6_S9_S6_23summary_stats_binary_opIfEEE10hipError_tPvRmT1_T2_T3_mT4_P12ihipStream_tbEUlT_E0_NS1_11comp_targetILNS1_3genE9ELNS1_11target_archE1100ELNS1_3gpuE3ELNS1_3repE0EEENS1_30default_config_static_selectorELNS0_4arch9wavefront6targetE0EEEvSF_.has_indirect_call, 0
	.section	.AMDGPU.csdata,"",@progbits
; Kernel info:
; codeLenInByte = 0
; TotalNumSgprs: 0
; NumVgprs: 0
; ScratchSize: 0
; MemoryBound: 0
; FloatMode: 240
; IeeeMode: 1
; LDSByteSize: 0 bytes/workgroup (compile time only)
; SGPRBlocks: 0
; VGPRBlocks: 0
; NumSGPRsForWavesPerEU: 1
; NumVGPRsForWavesPerEU: 1
; NamedBarCnt: 0
; Occupancy: 16
; WaveLimiterHint : 0
; COMPUTE_PGM_RSRC2:SCRATCH_EN: 0
; COMPUTE_PGM_RSRC2:USER_SGPR: 2
; COMPUTE_PGM_RSRC2:TRAP_HANDLER: 0
; COMPUTE_PGM_RSRC2:TGID_X_EN: 1
; COMPUTE_PGM_RSRC2:TGID_Y_EN: 0
; COMPUTE_PGM_RSRC2:TGID_Z_EN: 0
; COMPUTE_PGM_RSRC2:TIDIG_COMP_CNT: 0
	.section	.text._ZN7rocprim17ROCPRIM_400000_NS6detail17trampoline_kernelINS0_14default_configENS1_22reduce_config_selectorI18summary_stats_dataIfEEEZNS1_11reduce_implILb1ES3_PS6_S9_S6_23summary_stats_binary_opIfEEE10hipError_tPvRmT1_T2_T3_mT4_P12ihipStream_tbEUlT_E0_NS1_11comp_targetILNS1_3genE8ELNS1_11target_archE1030ELNS1_3gpuE2ELNS1_3repE0EEENS1_30default_config_static_selectorELNS0_4arch9wavefront6targetE0EEEvSF_,"axG",@progbits,_ZN7rocprim17ROCPRIM_400000_NS6detail17trampoline_kernelINS0_14default_configENS1_22reduce_config_selectorI18summary_stats_dataIfEEEZNS1_11reduce_implILb1ES3_PS6_S9_S6_23summary_stats_binary_opIfEEE10hipError_tPvRmT1_T2_T3_mT4_P12ihipStream_tbEUlT_E0_NS1_11comp_targetILNS1_3genE8ELNS1_11target_archE1030ELNS1_3gpuE2ELNS1_3repE0EEENS1_30default_config_static_selectorELNS0_4arch9wavefront6targetE0EEEvSF_,comdat
	.protected	_ZN7rocprim17ROCPRIM_400000_NS6detail17trampoline_kernelINS0_14default_configENS1_22reduce_config_selectorI18summary_stats_dataIfEEEZNS1_11reduce_implILb1ES3_PS6_S9_S6_23summary_stats_binary_opIfEEE10hipError_tPvRmT1_T2_T3_mT4_P12ihipStream_tbEUlT_E0_NS1_11comp_targetILNS1_3genE8ELNS1_11target_archE1030ELNS1_3gpuE2ELNS1_3repE0EEENS1_30default_config_static_selectorELNS0_4arch9wavefront6targetE0EEEvSF_ ; -- Begin function _ZN7rocprim17ROCPRIM_400000_NS6detail17trampoline_kernelINS0_14default_configENS1_22reduce_config_selectorI18summary_stats_dataIfEEEZNS1_11reduce_implILb1ES3_PS6_S9_S6_23summary_stats_binary_opIfEEE10hipError_tPvRmT1_T2_T3_mT4_P12ihipStream_tbEUlT_E0_NS1_11comp_targetILNS1_3genE8ELNS1_11target_archE1030ELNS1_3gpuE2ELNS1_3repE0EEENS1_30default_config_static_selectorELNS0_4arch9wavefront6targetE0EEEvSF_
	.globl	_ZN7rocprim17ROCPRIM_400000_NS6detail17trampoline_kernelINS0_14default_configENS1_22reduce_config_selectorI18summary_stats_dataIfEEEZNS1_11reduce_implILb1ES3_PS6_S9_S6_23summary_stats_binary_opIfEEE10hipError_tPvRmT1_T2_T3_mT4_P12ihipStream_tbEUlT_E0_NS1_11comp_targetILNS1_3genE8ELNS1_11target_archE1030ELNS1_3gpuE2ELNS1_3repE0EEENS1_30default_config_static_selectorELNS0_4arch9wavefront6targetE0EEEvSF_
	.p2align	8
	.type	_ZN7rocprim17ROCPRIM_400000_NS6detail17trampoline_kernelINS0_14default_configENS1_22reduce_config_selectorI18summary_stats_dataIfEEEZNS1_11reduce_implILb1ES3_PS6_S9_S6_23summary_stats_binary_opIfEEE10hipError_tPvRmT1_T2_T3_mT4_P12ihipStream_tbEUlT_E0_NS1_11comp_targetILNS1_3genE8ELNS1_11target_archE1030ELNS1_3gpuE2ELNS1_3repE0EEENS1_30default_config_static_selectorELNS0_4arch9wavefront6targetE0EEEvSF_,@function
_ZN7rocprim17ROCPRIM_400000_NS6detail17trampoline_kernelINS0_14default_configENS1_22reduce_config_selectorI18summary_stats_dataIfEEEZNS1_11reduce_implILb1ES3_PS6_S9_S6_23summary_stats_binary_opIfEEE10hipError_tPvRmT1_T2_T3_mT4_P12ihipStream_tbEUlT_E0_NS1_11comp_targetILNS1_3genE8ELNS1_11target_archE1030ELNS1_3gpuE2ELNS1_3repE0EEENS1_30default_config_static_selectorELNS0_4arch9wavefront6targetE0EEEvSF_: ; @_ZN7rocprim17ROCPRIM_400000_NS6detail17trampoline_kernelINS0_14default_configENS1_22reduce_config_selectorI18summary_stats_dataIfEEEZNS1_11reduce_implILb1ES3_PS6_S9_S6_23summary_stats_binary_opIfEEE10hipError_tPvRmT1_T2_T3_mT4_P12ihipStream_tbEUlT_E0_NS1_11comp_targetILNS1_3genE8ELNS1_11target_archE1030ELNS1_3gpuE2ELNS1_3repE0EEENS1_30default_config_static_selectorELNS0_4arch9wavefront6targetE0EEEvSF_
; %bb.0:
	.section	.rodata,"a",@progbits
	.p2align	6, 0x0
	.amdhsa_kernel _ZN7rocprim17ROCPRIM_400000_NS6detail17trampoline_kernelINS0_14default_configENS1_22reduce_config_selectorI18summary_stats_dataIfEEEZNS1_11reduce_implILb1ES3_PS6_S9_S6_23summary_stats_binary_opIfEEE10hipError_tPvRmT1_T2_T3_mT4_P12ihipStream_tbEUlT_E0_NS1_11comp_targetILNS1_3genE8ELNS1_11target_archE1030ELNS1_3gpuE2ELNS1_3repE0EEENS1_30default_config_static_selectorELNS0_4arch9wavefront6targetE0EEEvSF_
		.amdhsa_group_segment_fixed_size 0
		.amdhsa_private_segment_fixed_size 0
		.amdhsa_kernarg_size 80
		.amdhsa_user_sgpr_count 2
		.amdhsa_user_sgpr_dispatch_ptr 0
		.amdhsa_user_sgpr_queue_ptr 0
		.amdhsa_user_sgpr_kernarg_segment_ptr 1
		.amdhsa_user_sgpr_dispatch_id 0
		.amdhsa_user_sgpr_kernarg_preload_length 0
		.amdhsa_user_sgpr_kernarg_preload_offset 0
		.amdhsa_user_sgpr_private_segment_size 0
		.amdhsa_wavefront_size32 1
		.amdhsa_uses_dynamic_stack 0
		.amdhsa_enable_private_segment 0
		.amdhsa_system_sgpr_workgroup_id_x 1
		.amdhsa_system_sgpr_workgroup_id_y 0
		.amdhsa_system_sgpr_workgroup_id_z 0
		.amdhsa_system_sgpr_workgroup_info 0
		.amdhsa_system_vgpr_workitem_id 0
		.amdhsa_next_free_vgpr 1
		.amdhsa_next_free_sgpr 1
		.amdhsa_named_barrier_count 0
		.amdhsa_reserve_vcc 0
		.amdhsa_float_round_mode_32 0
		.amdhsa_float_round_mode_16_64 0
		.amdhsa_float_denorm_mode_32 3
		.amdhsa_float_denorm_mode_16_64 3
		.amdhsa_fp16_overflow 0
		.amdhsa_memory_ordered 1
		.amdhsa_forward_progress 1
		.amdhsa_inst_pref_size 0
		.amdhsa_round_robin_scheduling 0
		.amdhsa_exception_fp_ieee_invalid_op 0
		.amdhsa_exception_fp_denorm_src 0
		.amdhsa_exception_fp_ieee_div_zero 0
		.amdhsa_exception_fp_ieee_overflow 0
		.amdhsa_exception_fp_ieee_underflow 0
		.amdhsa_exception_fp_ieee_inexact 0
		.amdhsa_exception_int_div_zero 0
	.end_amdhsa_kernel
	.section	.text._ZN7rocprim17ROCPRIM_400000_NS6detail17trampoline_kernelINS0_14default_configENS1_22reduce_config_selectorI18summary_stats_dataIfEEEZNS1_11reduce_implILb1ES3_PS6_S9_S6_23summary_stats_binary_opIfEEE10hipError_tPvRmT1_T2_T3_mT4_P12ihipStream_tbEUlT_E0_NS1_11comp_targetILNS1_3genE8ELNS1_11target_archE1030ELNS1_3gpuE2ELNS1_3repE0EEENS1_30default_config_static_selectorELNS0_4arch9wavefront6targetE0EEEvSF_,"axG",@progbits,_ZN7rocprim17ROCPRIM_400000_NS6detail17trampoline_kernelINS0_14default_configENS1_22reduce_config_selectorI18summary_stats_dataIfEEEZNS1_11reduce_implILb1ES3_PS6_S9_S6_23summary_stats_binary_opIfEEE10hipError_tPvRmT1_T2_T3_mT4_P12ihipStream_tbEUlT_E0_NS1_11comp_targetILNS1_3genE8ELNS1_11target_archE1030ELNS1_3gpuE2ELNS1_3repE0EEENS1_30default_config_static_selectorELNS0_4arch9wavefront6targetE0EEEvSF_,comdat
.Lfunc_end8:
	.size	_ZN7rocprim17ROCPRIM_400000_NS6detail17trampoline_kernelINS0_14default_configENS1_22reduce_config_selectorI18summary_stats_dataIfEEEZNS1_11reduce_implILb1ES3_PS6_S9_S6_23summary_stats_binary_opIfEEE10hipError_tPvRmT1_T2_T3_mT4_P12ihipStream_tbEUlT_E0_NS1_11comp_targetILNS1_3genE8ELNS1_11target_archE1030ELNS1_3gpuE2ELNS1_3repE0EEENS1_30default_config_static_selectorELNS0_4arch9wavefront6targetE0EEEvSF_, .Lfunc_end8-_ZN7rocprim17ROCPRIM_400000_NS6detail17trampoline_kernelINS0_14default_configENS1_22reduce_config_selectorI18summary_stats_dataIfEEEZNS1_11reduce_implILb1ES3_PS6_S9_S6_23summary_stats_binary_opIfEEE10hipError_tPvRmT1_T2_T3_mT4_P12ihipStream_tbEUlT_E0_NS1_11comp_targetILNS1_3genE8ELNS1_11target_archE1030ELNS1_3gpuE2ELNS1_3repE0EEENS1_30default_config_static_selectorELNS0_4arch9wavefront6targetE0EEEvSF_
                                        ; -- End function
	.set _ZN7rocprim17ROCPRIM_400000_NS6detail17trampoline_kernelINS0_14default_configENS1_22reduce_config_selectorI18summary_stats_dataIfEEEZNS1_11reduce_implILb1ES3_PS6_S9_S6_23summary_stats_binary_opIfEEE10hipError_tPvRmT1_T2_T3_mT4_P12ihipStream_tbEUlT_E0_NS1_11comp_targetILNS1_3genE8ELNS1_11target_archE1030ELNS1_3gpuE2ELNS1_3repE0EEENS1_30default_config_static_selectorELNS0_4arch9wavefront6targetE0EEEvSF_.num_vgpr, 0
	.set _ZN7rocprim17ROCPRIM_400000_NS6detail17trampoline_kernelINS0_14default_configENS1_22reduce_config_selectorI18summary_stats_dataIfEEEZNS1_11reduce_implILb1ES3_PS6_S9_S6_23summary_stats_binary_opIfEEE10hipError_tPvRmT1_T2_T3_mT4_P12ihipStream_tbEUlT_E0_NS1_11comp_targetILNS1_3genE8ELNS1_11target_archE1030ELNS1_3gpuE2ELNS1_3repE0EEENS1_30default_config_static_selectorELNS0_4arch9wavefront6targetE0EEEvSF_.num_agpr, 0
	.set _ZN7rocprim17ROCPRIM_400000_NS6detail17trampoline_kernelINS0_14default_configENS1_22reduce_config_selectorI18summary_stats_dataIfEEEZNS1_11reduce_implILb1ES3_PS6_S9_S6_23summary_stats_binary_opIfEEE10hipError_tPvRmT1_T2_T3_mT4_P12ihipStream_tbEUlT_E0_NS1_11comp_targetILNS1_3genE8ELNS1_11target_archE1030ELNS1_3gpuE2ELNS1_3repE0EEENS1_30default_config_static_selectorELNS0_4arch9wavefront6targetE0EEEvSF_.numbered_sgpr, 0
	.set _ZN7rocprim17ROCPRIM_400000_NS6detail17trampoline_kernelINS0_14default_configENS1_22reduce_config_selectorI18summary_stats_dataIfEEEZNS1_11reduce_implILb1ES3_PS6_S9_S6_23summary_stats_binary_opIfEEE10hipError_tPvRmT1_T2_T3_mT4_P12ihipStream_tbEUlT_E0_NS1_11comp_targetILNS1_3genE8ELNS1_11target_archE1030ELNS1_3gpuE2ELNS1_3repE0EEENS1_30default_config_static_selectorELNS0_4arch9wavefront6targetE0EEEvSF_.num_named_barrier, 0
	.set _ZN7rocprim17ROCPRIM_400000_NS6detail17trampoline_kernelINS0_14default_configENS1_22reduce_config_selectorI18summary_stats_dataIfEEEZNS1_11reduce_implILb1ES3_PS6_S9_S6_23summary_stats_binary_opIfEEE10hipError_tPvRmT1_T2_T3_mT4_P12ihipStream_tbEUlT_E0_NS1_11comp_targetILNS1_3genE8ELNS1_11target_archE1030ELNS1_3gpuE2ELNS1_3repE0EEENS1_30default_config_static_selectorELNS0_4arch9wavefront6targetE0EEEvSF_.private_seg_size, 0
	.set _ZN7rocprim17ROCPRIM_400000_NS6detail17trampoline_kernelINS0_14default_configENS1_22reduce_config_selectorI18summary_stats_dataIfEEEZNS1_11reduce_implILb1ES3_PS6_S9_S6_23summary_stats_binary_opIfEEE10hipError_tPvRmT1_T2_T3_mT4_P12ihipStream_tbEUlT_E0_NS1_11comp_targetILNS1_3genE8ELNS1_11target_archE1030ELNS1_3gpuE2ELNS1_3repE0EEENS1_30default_config_static_selectorELNS0_4arch9wavefront6targetE0EEEvSF_.uses_vcc, 0
	.set _ZN7rocprim17ROCPRIM_400000_NS6detail17trampoline_kernelINS0_14default_configENS1_22reduce_config_selectorI18summary_stats_dataIfEEEZNS1_11reduce_implILb1ES3_PS6_S9_S6_23summary_stats_binary_opIfEEE10hipError_tPvRmT1_T2_T3_mT4_P12ihipStream_tbEUlT_E0_NS1_11comp_targetILNS1_3genE8ELNS1_11target_archE1030ELNS1_3gpuE2ELNS1_3repE0EEENS1_30default_config_static_selectorELNS0_4arch9wavefront6targetE0EEEvSF_.uses_flat_scratch, 0
	.set _ZN7rocprim17ROCPRIM_400000_NS6detail17trampoline_kernelINS0_14default_configENS1_22reduce_config_selectorI18summary_stats_dataIfEEEZNS1_11reduce_implILb1ES3_PS6_S9_S6_23summary_stats_binary_opIfEEE10hipError_tPvRmT1_T2_T3_mT4_P12ihipStream_tbEUlT_E0_NS1_11comp_targetILNS1_3genE8ELNS1_11target_archE1030ELNS1_3gpuE2ELNS1_3repE0EEENS1_30default_config_static_selectorELNS0_4arch9wavefront6targetE0EEEvSF_.has_dyn_sized_stack, 0
	.set _ZN7rocprim17ROCPRIM_400000_NS6detail17trampoline_kernelINS0_14default_configENS1_22reduce_config_selectorI18summary_stats_dataIfEEEZNS1_11reduce_implILb1ES3_PS6_S9_S6_23summary_stats_binary_opIfEEE10hipError_tPvRmT1_T2_T3_mT4_P12ihipStream_tbEUlT_E0_NS1_11comp_targetILNS1_3genE8ELNS1_11target_archE1030ELNS1_3gpuE2ELNS1_3repE0EEENS1_30default_config_static_selectorELNS0_4arch9wavefront6targetE0EEEvSF_.has_recursion, 0
	.set _ZN7rocprim17ROCPRIM_400000_NS6detail17trampoline_kernelINS0_14default_configENS1_22reduce_config_selectorI18summary_stats_dataIfEEEZNS1_11reduce_implILb1ES3_PS6_S9_S6_23summary_stats_binary_opIfEEE10hipError_tPvRmT1_T2_T3_mT4_P12ihipStream_tbEUlT_E0_NS1_11comp_targetILNS1_3genE8ELNS1_11target_archE1030ELNS1_3gpuE2ELNS1_3repE0EEENS1_30default_config_static_selectorELNS0_4arch9wavefront6targetE0EEEvSF_.has_indirect_call, 0
	.section	.AMDGPU.csdata,"",@progbits
; Kernel info:
; codeLenInByte = 0
; TotalNumSgprs: 0
; NumVgprs: 0
; ScratchSize: 0
; MemoryBound: 0
; FloatMode: 240
; IeeeMode: 1
; LDSByteSize: 0 bytes/workgroup (compile time only)
; SGPRBlocks: 0
; VGPRBlocks: 0
; NumSGPRsForWavesPerEU: 1
; NumVGPRsForWavesPerEU: 1
; NamedBarCnt: 0
; Occupancy: 16
; WaveLimiterHint : 0
; COMPUTE_PGM_RSRC2:SCRATCH_EN: 0
; COMPUTE_PGM_RSRC2:USER_SGPR: 2
; COMPUTE_PGM_RSRC2:TRAP_HANDLER: 0
; COMPUTE_PGM_RSRC2:TGID_X_EN: 1
; COMPUTE_PGM_RSRC2:TGID_Y_EN: 0
; COMPUTE_PGM_RSRC2:TGID_Z_EN: 0
; COMPUTE_PGM_RSRC2:TIDIG_COMP_CNT: 0
	.section	.text._ZN7rocprim17ROCPRIM_400000_NS6detail17trampoline_kernelINS0_14default_configENS1_22reduce_config_selectorI18summary_stats_dataIfEEEZNS1_11reduce_implILb1ES3_PS6_S9_S6_23summary_stats_binary_opIfEEE10hipError_tPvRmT1_T2_T3_mT4_P12ihipStream_tbEUlT_E1_NS1_11comp_targetILNS1_3genE0ELNS1_11target_archE4294967295ELNS1_3gpuE0ELNS1_3repE0EEENS1_30default_config_static_selectorELNS0_4arch9wavefront6targetE0EEEvSF_,"axG",@progbits,_ZN7rocprim17ROCPRIM_400000_NS6detail17trampoline_kernelINS0_14default_configENS1_22reduce_config_selectorI18summary_stats_dataIfEEEZNS1_11reduce_implILb1ES3_PS6_S9_S6_23summary_stats_binary_opIfEEE10hipError_tPvRmT1_T2_T3_mT4_P12ihipStream_tbEUlT_E1_NS1_11comp_targetILNS1_3genE0ELNS1_11target_archE4294967295ELNS1_3gpuE0ELNS1_3repE0EEENS1_30default_config_static_selectorELNS0_4arch9wavefront6targetE0EEEvSF_,comdat
	.protected	_ZN7rocprim17ROCPRIM_400000_NS6detail17trampoline_kernelINS0_14default_configENS1_22reduce_config_selectorI18summary_stats_dataIfEEEZNS1_11reduce_implILb1ES3_PS6_S9_S6_23summary_stats_binary_opIfEEE10hipError_tPvRmT1_T2_T3_mT4_P12ihipStream_tbEUlT_E1_NS1_11comp_targetILNS1_3genE0ELNS1_11target_archE4294967295ELNS1_3gpuE0ELNS1_3repE0EEENS1_30default_config_static_selectorELNS0_4arch9wavefront6targetE0EEEvSF_ ; -- Begin function _ZN7rocprim17ROCPRIM_400000_NS6detail17trampoline_kernelINS0_14default_configENS1_22reduce_config_selectorI18summary_stats_dataIfEEEZNS1_11reduce_implILb1ES3_PS6_S9_S6_23summary_stats_binary_opIfEEE10hipError_tPvRmT1_T2_T3_mT4_P12ihipStream_tbEUlT_E1_NS1_11comp_targetILNS1_3genE0ELNS1_11target_archE4294967295ELNS1_3gpuE0ELNS1_3repE0EEENS1_30default_config_static_selectorELNS0_4arch9wavefront6targetE0EEEvSF_
	.globl	_ZN7rocprim17ROCPRIM_400000_NS6detail17trampoline_kernelINS0_14default_configENS1_22reduce_config_selectorI18summary_stats_dataIfEEEZNS1_11reduce_implILb1ES3_PS6_S9_S6_23summary_stats_binary_opIfEEE10hipError_tPvRmT1_T2_T3_mT4_P12ihipStream_tbEUlT_E1_NS1_11comp_targetILNS1_3genE0ELNS1_11target_archE4294967295ELNS1_3gpuE0ELNS1_3repE0EEENS1_30default_config_static_selectorELNS0_4arch9wavefront6targetE0EEEvSF_
	.p2align	8
	.type	_ZN7rocprim17ROCPRIM_400000_NS6detail17trampoline_kernelINS0_14default_configENS1_22reduce_config_selectorI18summary_stats_dataIfEEEZNS1_11reduce_implILb1ES3_PS6_S9_S6_23summary_stats_binary_opIfEEE10hipError_tPvRmT1_T2_T3_mT4_P12ihipStream_tbEUlT_E1_NS1_11comp_targetILNS1_3genE0ELNS1_11target_archE4294967295ELNS1_3gpuE0ELNS1_3repE0EEENS1_30default_config_static_selectorELNS0_4arch9wavefront6targetE0EEEvSF_,@function
_ZN7rocprim17ROCPRIM_400000_NS6detail17trampoline_kernelINS0_14default_configENS1_22reduce_config_selectorI18summary_stats_dataIfEEEZNS1_11reduce_implILb1ES3_PS6_S9_S6_23summary_stats_binary_opIfEEE10hipError_tPvRmT1_T2_T3_mT4_P12ihipStream_tbEUlT_E1_NS1_11comp_targetILNS1_3genE0ELNS1_11target_archE4294967295ELNS1_3gpuE0ELNS1_3repE0EEENS1_30default_config_static_selectorELNS0_4arch9wavefront6targetE0EEEvSF_: ; @_ZN7rocprim17ROCPRIM_400000_NS6detail17trampoline_kernelINS0_14default_configENS1_22reduce_config_selectorI18summary_stats_dataIfEEEZNS1_11reduce_implILb1ES3_PS6_S9_S6_23summary_stats_binary_opIfEEE10hipError_tPvRmT1_T2_T3_mT4_P12ihipStream_tbEUlT_E1_NS1_11comp_targetILNS1_3genE0ELNS1_11target_archE4294967295ELNS1_3gpuE0ELNS1_3repE0EEENS1_30default_config_static_selectorELNS0_4arch9wavefront6targetE0EEEvSF_
; %bb.0:
	s_clause 0x3
	s_load_b32 s9, s[0:1], 0x4
	s_load_b128 s[16:19], s[0:1], 0x8
	s_load_b128 s[12:15], s[0:1], 0x20
	s_load_b96 s[20:22], s[0:1], 0x30
	s_wait_kmcnt 0x0
	s_cmp_lt_i32 s9, 2
	s_cbranch_scc1 .LBB9_9
; %bb.1:
	s_cmp_gt_i32 s9, 3
	s_cbranch_scc0 .LBB9_10
; %bb.2:
	s_cmp_eq_u32 s9, 4
	s_mov_b32 s26, 0
	s_cbranch_scc0 .LBB9_11
; %bb.3:
	s_bfe_u32 s2, ttmp6, 0x4000c
	s_and_b32 s3, ttmp6, 15
	s_add_co_i32 s2, s2, 1
	s_getreg_b32 s4, hwreg(HW_REG_IB_STS2, 6, 4)
	s_mul_i32 s2, ttmp9, s2
	s_mov_b32 s11, 0
	s_add_co_i32 s3, s3, s2
	s_cmp_eq_u32 s4, 0
	s_mov_b32 s25, s11
	s_cselect_b32 s10, ttmp9, s3
	s_delay_alu instid0(SALU_CYCLE_1) | instskip(NEXT) | instid1(SALU_CYCLE_1)
	s_lshl_b32 s24, s10, 10
	s_mul_u64 s[2:3], s[24:25], 28
	s_delay_alu instid0(SALU_CYCLE_1) | instskip(NEXT) | instid1(SALU_CYCLE_1)
	s_add_nc_u64 s[2:3], s[16:17], s[2:3]
	v_mad_nc_u64_u32 v[32:33], v0, 28, s[2:3]
	s_lshr_b64 s[2:3], s[18:19], 10
	s_delay_alu instid0(SALU_CYCLE_1)
	s_cmp_lg_u64 s[2:3], s[10:11]
	s_cbranch_scc0 .LBB9_20
; %bb.4:
	s_clause 0x7
	global_load_b128 v[18:21], v[32:33], off offset:7168
	global_load_b128 v[22:25], v[32:33], off
	global_load_b96 v[26:28], v[32:33], off offset:16
	global_load_b96 v[34:36], v[32:33], off offset:7184
	global_load_b128 v[6:9], v[32:33], off offset:14336
	global_load_b128 v[2:5], v[32:33], off offset:21504
	global_load_b96 v[14:16], v[32:33], off offset:14352
	global_load_b96 v[10:12], v[32:33], off offset:21520
	s_wait_loadcnt 0x7
	v_mov_b32_e32 v31, v18
	s_wait_loadcnt 0x6
	v_cmp_lt_f32_e32 vcc_lo, v19, v23
	v_dual_sub_f32 v1, v21, v25 :: v_dual_mov_b32 v21, v22
	s_wait_loadcnt 0x4
	v_mov_b32_e32 v30, v34
	v_dual_sub_f32 v29, v22, v18 :: v_dual_add_f32 v28, v28, v36
	v_cndmask_b32_e32 v13, v23, v19, vcc_lo
	v_cmp_lt_f32_e32 vcc_lo, v24, v20
	v_dual_add_f32 v23, v27, v35 :: v_dual_mul_f32 v37, v26, v18
	v_mul_f32_e32 v27, v27, v18
	v_dual_mul_f32 v36, v22, v22 :: v_dual_cndmask_b32 v19, v24, v20
	v_mov_b32_e32 v20, v26
	s_wait_loadcnt 0x3
	v_cmp_lt_f32_e32 vcc_lo, v7, v13
	v_dual_mul_f32 v38, v18, v18 :: v_dual_mul_f32 v41, v1, v1
	v_mov_b32_e32 v24, v25
	v_pk_add_f32 v[20:21], v[20:21], v[30:31]
	v_dual_mul_f32 v30, 0x40400000, v1 :: v_dual_cndmask_b32 v7, v13, v7
	v_cmp_lt_f32_e32 vcc_lo, v19, v8
	v_fma_f32 v31, v22, v34, -v37
	v_dual_fma_f32 v37, -v22, v18, v36 :: v_dual_fma_f32 v27, v22, v35, -v27
	s_wait_loadcnt 0x2
	v_cmp_lt_f32_e64 s2, v3, v7
	v_dual_cndmask_b32 v8, v19, v8 :: v_dual_mul_f32 v13, v1, v41
	v_dual_mul_f32 v42, v18, v1 :: v_dual_mul_f32 v34, v36, v34
	v_dual_mul_f32 v36, 4.0, v1 :: v_dual_fmac_f32 v37, v18, v18
	s_delay_alu instid0(VALU_DEP_4) | instskip(NEXT) | instid1(VALU_DEP_4)
	v_cndmask_b32_e64 v3, v7, v3, s2
	v_cmp_lt_f32_e64 s2, v8, v4
	v_dual_mul_f32 v35, v21, v21 :: v_dual_mul_f32 v30, v30, v31
	v_mul_f32_e32 v45, v22, v41
	v_dual_mul_f32 v31, 0x40c00000, v41 :: v_dual_fmac_f32 v34, v26, v38
	v_dual_mul_f32 v26, v36, v27 :: v_dual_sub_f32 v27, v21, v6
	v_cndmask_b32_e64 v4, v8, v4, s2
	v_mov_b32_dpp v46, v3 quad_perm:[1,0,3,2] row_mask:0xf bank_mask:0xf
	v_div_scale_f32 v43, null, v21, v21, v42
	v_dual_mul_f32 v1, v1, v13 :: v_dual_mul_f32 v13, v22, v13
	s_delay_alu instid0(VALU_DEP_4) | instskip(NEXT) | instid1(VALU_DEP_4)
	v_mov_b32_dpp v47, v4 quad_perm:[1,0,3,2] row_mask:0xf bank_mask:0xf
	v_cmp_lt_f32_e64 s6, v3, v46
	s_delay_alu instid0(VALU_DEP_4) | instskip(SKIP_2) | instid1(VALU_DEP_3)
	v_rcp_f32_e32 v8, v43
	v_dual_mul_f32 v36, v18, v45 :: v_dual_mul_f32 v31, v31, v34
	v_div_scale_f32 v44, vcc_lo, v42, v21, v42
	v_cndmask_b32_e64 v3, v46, v3, s6
	v_cmp_gt_f32_e64 s6, v4, v47
	v_mul_f32_e32 v1, v22, v1
	v_div_scale_f32 v48, null, v21, v21, v36
	v_div_scale_f32 v34, null, v21, v21, v26
	s_delay_alu instid0(VALU_DEP_4) | instskip(SKIP_2) | instid1(VALU_DEP_4)
	v_cndmask_b32_e64 v4, v47, v4, s6
	v_fma_f32 v47, -v43, v8, 1.0
	v_mul_f32_e32 v13, v18, v13
	v_rcp_f32_e32 v46, v34
	v_div_scale_f32 v38, null, v21, v21, v30
	s_delay_alu instid0(VALU_DEP_2)
	v_dual_fmac_f32 v8, v47, v8 :: v_dual_mul_f32 v13, v29, v13
	v_mul_f32_e32 v1, v18, v1
	v_mov_b32_dpp v18, v3 quad_perm:[2,3,0,1] row_mask:0xf bank_mask:0xf
	v_mov_b32_dpp v47, v4 quad_perm:[2,3,0,1] row_mask:0xf bank_mask:0xf
	v_rcp_f32_e32 v29, v48
	v_fma_f32 v54, -v34, v46, 1.0
	v_rcp_f32_e32 v49, v38
	v_cmp_lt_f32_e64 s6, v3, v18
	v_div_scale_f32 v50, null, v35, v35, v31
	s_delay_alu instid0(VALU_DEP_3) | instskip(SKIP_1) | instid1(VALU_DEP_4)
	v_fmac_f32_e32 v46, v54, v46
	v_div_scale_f32 v22, s4, v36, v21, v36
	v_dual_cndmask_b32 v3, v18, v3, s6 :: v_dual_mul_f32 v37, v37, v1
	v_mul_f32_e32 v1, v44, v8
	v_cmp_gt_f32_e64 s6, v4, v47
	v_fma_f32 v18, -v48, v29, 1.0
	v_rcp_f32_e32 v52, v50
	v_fma_f32 v53, -v38, v49, 1.0
	v_div_scale_f32 v55, null, v35, v35, v13
	s_delay_alu instid0(VALU_DEP_3) | instskip(SKIP_3) | instid1(VALU_DEP_3)
	v_dual_cndmask_b32 v4, v47, v4, s6 :: v_dual_fmac_f32 v29, v18, v29
	v_dual_fma_f32 v47, -v43, v1, v44 :: v_dual_mov_b32 v19, v21
	v_mul_f32_e32 v7, v21, v35
	v_div_scale_f32 v41, s2, v30, v21, v30
	v_fmac_f32_e32 v1, v47, v8
	v_div_scale_f32 v45, s3, v26, v21, v26
	v_div_scale_f32 v51, s5, v31, v35, v31
	s_delay_alu instid0(VALU_DEP_3)
	v_fma_f32 v18, -v43, v1, v44
	v_mul_f32_e32 v43, v22, v29
	v_fmac_f32_e32 v49, v53, v49
	v_fma_f32 v53, -v50, v52, 1.0
	v_div_scale_f32 v44, null, v7, v7, v37
	v_div_fmas_f32 v1, v18, v8, v1
	v_rcp_f32_e32 v8, v55
	s_delay_alu instid0(VALU_DEP_3) | instskip(SKIP_1) | instid1(VALU_DEP_3)
	v_dual_fmac_f32 v52, v53, v52 :: v_dual_fma_f32 v54, -v48, v43, v22
	v_div_scale_f32 v47, s6, v13, v35, v13
	v_div_fixup_f32 v18, v1, v21, v42
	v_mov_b32_dpp v1, v3 row_ror:4 row_mask:0xf bank_mask:0xf
	v_mov_b32_dpp v42, v4 row_ror:4 row_mask:0xf bank_mask:0xf
	v_dual_fmac_f32 v43, v54, v29 :: v_dual_mul_f32 v54, v45, v46
	v_dual_mul_f32 v39, v6, v6 :: v_dual_mov_b32 v25, v6
	s_delay_alu instid0(VALU_DEP_4) | instskip(SKIP_1) | instid1(VALU_DEP_3)
	v_cmp_lt_f32_e32 vcc_lo, v3, v1
	v_dual_mul_f32 v40, v2, v2 :: v_dual_mov_b32 v17, v2
	v_pk_add_f32 v[18:19], v[24:25], v[18:19]
	v_cndmask_b32_e32 v1, v1, v3, vcc_lo
	v_cmp_gt_f32_e32 vcc_lo, v4, v42
	v_mul_f32_e32 v53, v41, v49
	v_rcp_f32_e32 v3, v44
	v_dual_sub_f32 v9, v9, v18 :: v_dual_cndmask_b32 v42, v42, v4
	v_fma_f32 v4, -v48, v43, v22
	v_fma_f32 v22, -v55, v8, 1.0
	v_fma_f32 v48, -v38, v53, v41
	s_mov_b32 vcc_lo, s4
	v_mov_b32_dpp v25, v42 row_ror:8 row_mask:0xf bank_mask:0xf
	v_div_fmas_f32 v4, v4, v29, v43
	s_delay_alu instid0(VALU_DEP_3) | instskip(SKIP_4) | instid1(VALU_DEP_4)
	v_dual_fmac_f32 v8, v22, v8 :: v_dual_fmac_f32 v53, v48, v49
	v_mov_b32_dpp v22, v1 row_ror:8 row_mask:0xf bank_mask:0xf
	v_dual_mul_f32 v29, v51, v52 :: v_dual_fma_f32 v43, -v34, v54, v45
	v_fma_f32 v48, -v44, v3, 1.0
	v_div_fixup_f32 v4, v4, v21, v36
	v_cmp_lt_f32_e32 vcc_lo, v1, v22
	s_delay_alu instid0(VALU_DEP_3) | instskip(NEXT) | instid1(VALU_DEP_3)
	v_fmac_f32_e32 v3, v48, v3
	v_dual_add_f32 v4, v20, v4 :: v_dual_cndmask_b32 v1, v22, v1
	v_mul_f32_e32 v22, v47, v8
	v_dual_fmac_f32 v54, v43, v46 :: v_dual_fma_f32 v43, -v50, v29, v51
	v_fma_f32 v38, -v38, v53, v41
	v_div_scale_f32 v41, s4, v37, v7, v37
	s_delay_alu instid0(VALU_DEP_4) | instskip(NEXT) | instid1(VALU_DEP_4)
	v_fma_f32 v48, -v55, v22, v47
	v_dual_fmac_f32 v29, v43, v52 :: v_dual_fma_f32 v43, -v21, v6, v35
	s_delay_alu instid0(VALU_DEP_3) | instskip(SKIP_1) | instid1(VALU_DEP_3)
	v_dual_fma_f32 v34, -v34, v54, v45 :: v_dual_mul_f32 v45, v41, v3
	s_wait_loadcnt 0x1
	v_dual_fmac_f32 v22, v48, v8 :: v_dual_mul_f32 v48, v35, v14
	s_delay_alu instid0(VALU_DEP_3) | instskip(SKIP_4) | instid1(VALU_DEP_3)
	v_fmac_f32_e32 v43, v6, v6
	s_mov_b32 vcc_lo, s6
	v_fma_f32 v24, -v44, v45, v41
	v_fma_f32 v50, -v50, v29, v51
	;; [unrolled: 1-line block ×3, first 2 shown]
	v_dual_fmac_f32 v48, v39, v4 :: v_dual_fmac_f32 v45, v24, v3
	v_dual_mul_f32 v24, v19, v19 :: v_dual_sub_f32 v47, v19, v2
	s_delay_alu instid0(VALU_DEP_3) | instskip(SKIP_1) | instid1(VALU_DEP_3)
	v_div_fmas_f32 v8, v36, v8, v22
	s_mov_b32 vcc_lo, s2
	v_fma_f32 v20, -v44, v45, v41
	v_dual_mul_f32 v41, v6, v9 :: v_dual_mul_f32 v44, 0x40400000, v9
	v_div_fmas_f32 v38, v38, v49, v53
	s_mov_b32 vcc_lo, s4
	v_dual_mul_f32 v22, v19, v24 :: v_dual_mul_f32 v36, v9, v9
	v_div_fixup_f32 v8, v8, v35, v13
	s_wait_loadcnt 0x0
	v_mul_f32_e32 v13, v24, v10
	v_div_fmas_f32 v3, v20, v3, v45
	v_dual_add_f32 v20, v4, v14 :: v_dual_mul_f32 v45, v6, v4
	v_div_scale_f32 v39, null, v19, v19, v41
	s_mov_b32 vcc_lo, s5
	v_div_fixup_f32 v3, v3, v7, v37
	v_div_fmas_f32 v29, v50, v52, v29
	v_dual_mul_f32 v52, v21, v36 :: v_dual_fma_f32 v7, v21, v14, -v45
	v_rcp_f32_e32 v14, v39
	v_dual_mul_f32 v49, 4.0, v9 :: v_dual_fma_f32 v51, -v19, v2, v24
	v_mul_f32_e32 v4, v9, v36
	v_div_fixup_f32 v30, v38, v21, v30
	v_add_f32_e32 v8, v23, v8
	v_div_fixup_f32 v29, v29, v35, v31
	s_delay_alu instid0(TRANS32_DEP_1) | instskip(SKIP_3) | instid1(VALU_DEP_4)
	v_fma_f32 v35, -v39, v14, 1.0
	v_dual_mul_f32 v36, 0x40c00000, v36 :: v_dual_add_f32 v3, v28, v3
	v_dual_fmac_f32 v51, v2, v2 :: v_dual_mul_f32 v9, v9, v4
	v_dual_mul_f32 v31, v44, v7 :: v_dual_add_f32 v8, v30, v8
	v_dual_fmac_f32 v14, v35, v14 :: v_dual_mul_f32 v4, v21, v4
	s_delay_alu instid0(VALU_DEP_4) | instskip(NEXT) | instid1(VALU_DEP_3)
	v_dual_mul_f32 v36, v36, v48 :: v_dual_add_f32 v3, v29, v3
	v_add_f32_e32 v29, v8, v15
	s_mov_b32 vcc_lo, s3
	s_delay_alu instid0(VALU_DEP_3) | instskip(SKIP_3) | instid1(VALU_DEP_3)
	v_mul_f32_e32 v4, v6, v4
	v_dual_mul_f32 v23, v6, v52 :: v_dual_mul_f32 v7, v21, v9
	v_div_fmas_f32 v34, v34, v46, v54
	v_div_scale_f32 v9, null, v24, v24, v36
	v_div_scale_f32 v28, null, v19, v19, v23
	s_delay_alu instid0(VALU_DEP_3) | instskip(SKIP_1) | instid1(VALU_DEP_3)
	v_div_fixup_f32 v26, v34, v21, v26
	v_dual_mul_f32 v8, v6, v8 :: v_dual_mul_f32 v6, v6, v7
	v_rcp_f32_e32 v37, v28
	s_delay_alu instid0(VALU_DEP_2)
	v_dual_mul_f32 v4, v27, v4 :: v_dual_add_f32 v3, v26, v3
	v_div_scale_f32 v27, null, v19, v19, v31
	v_rcp_f32_e32 v44, v9
	v_div_scale_f32 v50, s4, v41, v19, v41
	v_dual_fma_f32 v7, v21, v15, -v8 :: v_dual_mul_f32 v26, v43, v6
	v_div_scale_f32 v8, null, v24, v24, v4
	v_rcp_f32_e32 v21, v27
	s_delay_alu instid0(VALU_DEP_3)
	v_dual_mul_f32 v6, v50, v14 :: v_dual_add_f32 v45, v16, v3
	v_fma_f32 v35, -v28, v37, 1.0
	v_fma_f32 v43, -v9, v44, 1.0
	v_rcp_f32_e32 v46, v8
	v_div_scale_f32 v48, null, v22, v22, v26
	v_div_scale_f32 v30, s5, v23, v19, v23
	v_div_scale_f32 v34, s2, v36, v24, v36
	v_dual_mul_f32 v49, v49, v7 :: v_dual_fma_f32 v3, -v39, v6, v50
	v_fma_f32 v7, -v27, v21, 1.0
	v_fmac_f32_e32 v44, v43, v44
	v_fmac_f32_e32 v37, v35, v37
	v_rcp_f32_e32 v35, v48
	v_div_scale_f32 v38, s3, v31, v19, v31
	v_fma_f32 v16, -v8, v46, 1.0
	v_fmac_f32_e32 v21, v7, v21
	v_dual_fmac_f32 v6, v3, v14 :: v_dual_mul_f32 v54, v34, v44
	v_mul_f32_e32 v3, v30, v37
	v_div_scale_f32 v43, null, v19, v19, v49
	s_delay_alu instid0(VALU_DEP_3) | instskip(SKIP_1) | instid1(VALU_DEP_4)
	v_fma_f32 v7, -v39, v6, v50
	v_fmac_f32_e32 v46, v16, v46
	v_fma_f32 v39, -v28, v3, v30
	v_fma_f32 v16, -v48, v35, 1.0
	v_rcp_f32_e32 v55, v43
	s_mov_b32 vcc_lo, s4
	v_div_scale_f32 v15, s6, v4, v24, v4
	v_div_scale_f32 v52, s7, v26, v22, v26
	v_mul_f32_e32 v50, v38, v21
	v_fmac_f32_e32 v3, v39, v37
	v_div_fmas_f32 v6, v7, v14, v6
	v_dual_fmac_f32 v35, v16, v35 :: v_dual_fma_f32 v56, -v9, v54, v34
	v_div_scale_f32 v53, s8, v49, v19, v49
	v_fma_f32 v39, -v43, v55, 1.0
	s_delay_alu instid0(VALU_DEP_4)
	v_div_fixup_f32 v16, v6, v19, v41
	v_fma_f32 v6, -v28, v3, v30
	v_dual_mul_f32 v30, v52, v35 :: v_dual_mul_f32 v14, v15, v46
	v_fmac_f32_e32 v54, v56, v44
	v_fma_f32 v7, -v27, v50, v38
	v_fmac_f32_e32 v55, v39, v55
	s_mov_b32 vcc_lo, s5
	v_fma_f32 v28, -v8, v14, v15
	v_fma_f32 v9, -v9, v54, v34
	s_delay_alu instid0(VALU_DEP_3) | instskip(NEXT) | instid1(VALU_DEP_3)
	v_dual_fmac_f32 v50, v7, v21 :: v_dual_mul_f32 v34, v53, v55
	v_fmac_f32_e32 v14, v28, v46
	s_delay_alu instid0(VALU_DEP_2) | instskip(NEXT) | instid1(VALU_DEP_2)
	v_fma_f32 v27, -v27, v50, v38
	v_fma_f32 v8, -v8, v14, v15
	s_delay_alu instid0(VALU_DEP_4)
	v_fma_f32 v15, -v43, v34, v53
	v_div_fmas_f32 v3, v6, v37, v3
	v_pk_add_f32 v[6:7], v[18:19], v[16:17]
	v_fma_f32 v28, -v48, v30, v52
	s_mov_b32 vcc_lo, s6
	v_fmac_f32_e32 v34, v15, v55
	v_div_fixup_f32 v16, v3, v19, v23
	v_dual_sub_f32 v5, v5, v6 :: v_dual_mul_f32 v17, v7, v7
	v_fmac_f32_e32 v30, v28, v35
	v_div_fmas_f32 v8, v8, v46, v14
	s_mov_b32 vcc_lo, s3
	v_mov_b32_dpp v3, v7 quad_perm:[1,0,3,2] row_mask:0xf bank_mask:0xf
	v_dual_add_f32 v16, v20, v16 :: v_dual_mul_f32 v15, v5, v5
	v_dual_fma_f32 v14, -v48, v30, v52 :: v_dual_mul_f32 v18, v2, v5
	v_div_fmas_f32 v21, v27, v21, v50
	v_div_fixup_f32 v4, v8, v24, v4
	s_mov_b32 vcc_lo, s7
	v_dual_mul_f32 v28, v7, v17 :: v_dual_mul_f32 v27, v5, v15
	v_sub_f32_e32 v37, v3, v7
	v_dual_mul_f32 v38, v3, v3 :: v_dual_mul_f32 v39, v2, v16
	v_div_fmas_f32 v8, v14, v35, v30
	v_dual_fma_f32 v14, -v43, v34, v53 :: v_dual_add_f32 v4, v29, v4
	v_dual_add_f32 v30, v16, v10 :: v_dual_mul_f32 v35, v19, v15
	v_fmac_f32_e32 v13, v40, v16
	v_div_scale_f32 v16, null, v7, v7, v18
	v_div_fixup_f32 v21, v21, v19, v31
	v_mul_f32_e32 v15, 0x40c00000, v15
	s_mov_b32 vcc_lo, s2
	v_dual_mul_f32 v20, 0x40400000, v5 :: v_dual_mul_f32 v23, 4.0, v5
	v_div_fmas_f32 v9, v9, v44, v54
	v_div_fixup_f32 v8, v8, v22, v26
	v_dual_mul_f32 v5, v5, v27 :: v_dual_mul_f32 v26, v19, v27
	v_dual_add_f32 v4, v21, v4 :: v_dual_mul_f32 v13, v15, v13
	v_rcp_f32_e32 v15, v16
	s_mov_b32 vcc_lo, s8
	v_dual_fma_f32 v41, -v7, v3, v38 :: v_dual_add_f32 v8, v45, v8
	v_div_fmas_f32 v14, v14, v55, v34
	v_dual_mul_f32 v22, v2, v35 :: v_dual_fma_f32 v10, v19, v10, -v39
	v_div_fixup_f32 v9, v9, v24, v36
	v_dual_mul_f32 v21, v2, v26 :: v_dual_mul_f32 v5, v19, v5
	v_fma_f32 v29, -v16, v15, 1.0
	s_delay_alu instid0(VALU_DEP_4)
	v_dual_fmac_f32 v41, v7, v7 :: v_dual_mul_f32 v10, v20, v10
	v_div_fixup_f32 v14, v14, v19, v49
	v_div_scale_f32 v20, null, v7, v7, v22
	v_dual_add_f32 v8, v9, v8 :: v_dual_add_f32 v9, v4, v11
	v_mul_f32_e32 v21, v47, v21
	v_dual_mul_f32 v5, v2, v5 :: v_dual_mul_f32 v2, v2, v4
	v_div_scale_f32 v40, s3, v18, v7, v18
	s_delay_alu instid0(VALU_DEP_4) | instskip(SKIP_3) | instid1(VALU_DEP_3)
	v_dual_fmac_f32 v15, v29, v15 :: v_dual_add_f32 v8, v14, v8
	v_div_scale_f32 v26, null, v17, v17, v13
	v_rcp_f32_e32 v4, v20
	v_div_scale_f32 v31, null, v7, v7, v10
	v_dual_fma_f32 v2, v19, v11, -v2 :: v_dual_add_f32 v8, v12, v8
	v_div_scale_f32 v11, null, v17, v17, v21
	v_dual_mul_f32 v5, v51, v5 :: v_dual_mul_f32 v29, v40, v15
	v_rcp_f32_e32 v35, v26
	v_rcp_f32_e32 v19, v31
	v_mul_f32_e32 v12, v23, v2
	v_rcp_f32_e32 v2, v11
	v_fma_f32 v36, -v20, v4, 1.0
	v_fma_f32 v44, -v16, v29, v40
	v_div_scale_f32 v23, null, v28, v28, v5
	v_fma_f32 v39, -v26, v35, 1.0
	v_div_scale_f32 v24, s2, v22, v7, v22
	v_fmac_f32_e32 v4, v36, v4
	v_fma_f32 v36, -v31, v19, 1.0
	v_fma_f32 v47, -v11, v2, 1.0
	v_fmac_f32_e32 v29, v44, v15
	v_fmac_f32_e32 v35, v39, v35
	v_rcp_f32_e32 v39, v23
	v_div_scale_f32 v27, s4, v13, v17, v13
	v_div_scale_f32 v34, s5, v10, v7, v10
	;; [unrolled: 1-line block ×3, first 2 shown]
	v_dual_mul_f32 v44, v24, v4 :: v_dual_fmac_f32 v2, v47, v2
	v_fmac_f32_e32 v19, v36, v19
	v_fma_f32 v16, -v16, v29, v40
	v_div_scale_f32 v45, null, v7, v7, v12
	s_mov_b32 vcc_lo, s3
	v_mul_f32_e32 v36, v27, v35
	v_fma_f32 v49, -v23, v39, 1.0
	v_div_fmas_f32 v15, v16, v15, v29
	v_mul_f32_e32 v16, v14, v2
	v_dual_mul_f32 v47, v34, v19 :: v_dual_fma_f32 v40, -v20, v44, v24
	v_rcp_f32_e32 v48, v45
	v_div_scale_f32 v43, s7, v5, v28, v5
	s_delay_alu instid0(VALU_DEP_2) | instskip(SKIP_2) | instid1(TRANS32_DEP_1)
	v_dual_fma_f32 v29, -v31, v47, v34 :: v_dual_fmac_f32 v44, v40, v4
	v_fmac_f32_e32 v39, v49, v39
	v_fma_f32 v50, -v26, v36, v27
	v_fma_f32 v40, -v45, v48, 1.0
	v_div_fixup_f32 v15, v15, v7, v18
	v_dual_fma_f32 v18, -v20, v44, v24 :: v_dual_fmac_f32 v47, v29, v19
	v_fma_f32 v20, -v11, v16, v14
	v_mul_f32_e32 v24, v43, v39
	v_fmac_f32_e32 v36, v50, v35
	s_mov_b32 vcc_lo, s2
	v_div_scale_f32 v46, s8, v12, v7, v12
	v_dual_fmac_f32 v48, v40, v48 :: v_dual_add_f32 v15, v6, v15
	s_delay_alu instid0(VALU_DEP_3) | instskip(SKIP_1) | instid1(VALU_DEP_3)
	v_dual_fma_f32 v26, -v26, v36, v27 :: v_dual_fmac_f32 v16, v20, v2
	v_div_fmas_f32 v4, v18, v4, v44
	v_dual_mul_f32 v18, v46, v48 :: v_dual_fma_f32 v20, -v31, v47, v34
	v_fma_f32 v6, -v23, v24, v43
	s_delay_alu instid0(VALU_DEP_4) | instskip(NEXT) | instid1(VALU_DEP_4)
	v_fma_f32 v11, -v11, v16, v14
	v_div_fixup_f32 v4, v4, v7, v22
	v_mov_b32_dpp v22, v15 quad_perm:[1,0,3,2] row_mask:0xf bank_mask:0xf
	s_mov_b32 vcc_lo, s6
	v_dual_fma_f32 v14, -v45, v18, v46 :: v_dual_fmac_f32 v24, v6, v39
	s_delay_alu instid0(VALU_DEP_3)
	v_add_f32_e32 v6, v30, v4
	v_div_fmas_f32 v2, v11, v2, v16
	v_sub_f32_e32 v11, v15, v22
	s_mov_b32 vcc_lo, s5
	v_fmac_f32_e32 v18, v14, v48
	v_div_fmas_f32 v14, v20, v19, v47
	s_mov_b32 vcc_lo, s7
	v_mul_f32_e32 v19, v11, v11
	s_delay_alu instid0(VALU_DEP_3) | instskip(SKIP_3) | instid1(VALU_DEP_4)
	v_dual_fma_f32 v4, -v23, v24, v43 :: v_dual_fma_f32 v16, -v45, v18, v46
	v_div_fixup_f32 v15, v2, v17, v21
	v_mov_b32_dpp v2, v6 quad_perm:[1,0,3,2] row_mask:0xf bank_mask:0xf
	v_div_fixup_f32 v10, v14, v7, v10
	v_div_fmas_f32 v4, v4, v39, v24
	s_mov_b32 vcc_lo, s4
	v_dual_mul_f32 v20, v7, v11 :: v_dual_mul_f32 v21, 0x40400000, v11
	v_div_fmas_f32 v14, v26, v35, v36
	s_mov_b32 vcc_lo, s8
	v_dual_mul_f32 v23, 4.0, v11 :: v_dual_mul_f32 v26, v7, v2
	v_add_f32_e32 v9, v9, v15
	v_div_fixup_f32 v15, v4, v28, v5
	v_div_fmas_f32 v16, v16, v48, v18
	v_mul_f32_e32 v18, v11, v19
	v_dual_mul_f32 v24, v19, v3 :: v_dual_mul_f32 v27, v17, v2
	v_pk_add_f32 v[4:5], v[6:7], v[2:3]
	v_mul_f32_e32 v19, 0x40c00000, v19
	v_div_fixup_f32 v2, v14, v17, v13
	s_delay_alu instid0(VALU_DEP_4) | instskip(SKIP_4) | instid1(VALU_DEP_3)
	v_dual_add_f32 v8, v8, v15 :: v_dual_mul_f32 v13, v7, v24
	v_mul_f32_e32 v14, v18, v3
	v_dual_fma_f32 v15, v6, v3, -v26 :: v_dual_fmac_f32 v27, v6, v38
	v_div_scale_f32 v6, null, v5, v5, v20
	v_dual_add_f32 v10, v10, v9 :: v_dual_mul_f32 v11, v11, v18
	v_dual_mul_f32 v14, v7, v14 :: v_dual_mul_f32 v15, v21, v15
	s_delay_alu instid0(VALU_DEP_3)
	v_rcp_f32_e32 v21, v6
	v_div_fixup_f32 v12, v16, v7, v12
	v_dual_mul_f32 v16, v5, v5 :: v_dual_add_f32 v2, v2, v8
	v_mov_b32_dpp v8, v10 quad_perm:[1,0,3,2] row_mask:0xf bank_mask:0xf
	v_mul_f32_e32 v11, v11, v3
	v_div_scale_f32 v24, null, v5, v5, v13
	s_delay_alu instid0(VALU_DEP_4)
	v_dual_mul_f32 v18, v19, v27 :: v_dual_add_f32 v2, v12, v2
	v_mul_f32_e32 v19, v5, v16
	v_dual_add_f32 v12, v10, v8 :: v_dual_mul_f32 v14, v37, v14
	v_dual_mul_f32 v11, v7, v11 :: v_dual_mul_f32 v7, v7, v8
	v_rcp_f32_e32 v8, v24
	v_div_scale_f32 v27, null, v5, v5, v15
	v_fma_f32 v31, -v6, v21, 1.0
	v_div_scale_f32 v17, vcc_lo, v20, v5, v20
	v_div_scale_f32 v29, null, v16, v16, v18
	v_mov_b32_dpp v34, v2 quad_perm:[1,0,3,2] row_mask:0xf bank_mask:0xf
	s_delay_alu instid0(VALU_DEP_4)
	v_dual_mul_f32 v11, v41, v11 :: v_dual_fmac_f32 v21, v31, v21
	v_fma_f32 v3, v10, v3, -v7
	v_div_scale_f32 v7, null, v16, v16, v14
	v_rcp_f32_e32 v35, v27
	v_fma_f32 v31, -v24, v8, 1.0
	v_rcp_f32_e32 v36, v29
	v_dual_mul_f32 v38, v17, v21 :: v_dual_add_f32 v2, v2, v34
	v_mul_f32_e32 v3, v23, v3
	v_rcp_f32_e32 v23, v7
	v_div_scale_f32 v34, null, v19, v19, v11
	v_div_scale_f32 v26, s2, v13, v5, v13
	v_dual_fmac_f32 v8, v31, v8 :: v_dual_fma_f32 v44, -v6, v38, v17
	v_fma_f32 v31, -v27, v35, 1.0
	s_delay_alu instid0(VALU_DEP_4)
	v_rcp_f32_e32 v40, v34
	v_div_scale_f32 v41, null, v5, v5, v3
	v_div_scale_f32 v28, s3, v15, v5, v15
	v_fma_f32 v39, -v29, v36, 1.0
	v_dual_mul_f32 v45, v26, v8 :: v_dual_fmac_f32 v35, v31, v35
	v_fma_f32 v46, -v7, v23, 1.0
	v_rcp_f32_e32 v31, v41
	v_div_scale_f32 v30, s4, v18, v16, v18
	v_div_scale_f32 v10, s5, v14, v16, v14
	v_dual_fmac_f32 v36, v39, v36 :: v_dual_fmac_f32 v38, v44, v21
	v_dual_fma_f32 v39, -v24, v45, v26 :: v_dual_fmac_f32 v23, v46, v23
	s_delay_alu instid0(VALU_DEP_2)
	v_dual_mul_f32 v44, v28, v35 :: v_dual_mul_f32 v47, v30, v36
	v_fma_f32 v46, -v34, v40, 1.0
	v_div_scale_f32 v37, s6, v11, v19, v11
	v_fma_f32 v6, -v6, v38, v17
	v_dual_fmac_f32 v45, v39, v8 :: v_dual_mul_f32 v17, v10, v23
	v_fma_f32 v39, -v27, v44, v28
	v_dual_fmac_f32 v40, v46, v40 :: v_dual_fma_f32 v46, -v29, v47, v30
	v_fma_f32 v48, -v41, v31, 1.0
	v_div_scale_f32 v43, s7, v3, v5, v3
	v_div_fmas_f32 v6, v6, v21, v38
	v_dual_fma_f32 v21, -v24, v45, v26 :: v_dual_fmac_f32 v44, v39, v35
	v_dual_fma_f32 v24, -v7, v17, v10 :: v_dual_mul_f32 v26, v37, v40
	v_fmac_f32_e32 v31, v48, v31
	s_mov_b32 vcc_lo, s2
	s_delay_alu instid0(VALU_DEP_2) | instskip(SKIP_3) | instid1(VALU_DEP_4)
	v_dual_fmac_f32 v47, v46, v36 :: v_dual_fmac_f32 v17, v24, v23
	v_div_fixup_f32 v6, v6, v5, v20
	v_div_fmas_f32 v8, v21, v8, v45
	v_dual_fma_f32 v20, -v27, v44, v28 :: v_dual_fma_f32 v21, -v34, v26, v37
	v_fma_f32 v24, -v29, v47, v30
	s_delay_alu instid0(VALU_DEP_4) | instskip(NEXT) | instid1(VALU_DEP_4)
	v_dual_mul_f32 v27, v43, v31 :: v_dual_add_f32 v6, v6, v22
	v_div_fixup_f32 v8, v8, v5, v13
	v_fma_f32 v7, -v7, v17, v10
	s_mov_b32 vcc_lo, s5
	s_delay_alu instid0(VALU_DEP_3)
	v_fma_f32 v10, -v41, v27, v43
	v_fmac_f32_e32 v26, v21, v40
	v_mov_b32_dpp v9, v5 quad_perm:[2,3,0,1] row_mask:0xf bank_mask:0xf
	v_div_fmas_f32 v7, v7, v23, v17
	s_mov_b32 vcc_lo, s3
	v_dual_fmac_f32 v27, v10, v31 :: v_dual_add_f32 v4, v4, v8
	v_fma_f32 v8, -v34, v26, v37
	v_div_fmas_f32 v13, v20, v35, v44
	s_mov_b32 vcc_lo, s6
	v_mov_b32_dpp v10, v6 quad_perm:[2,3,0,1] row_mask:0xf bank_mask:0xf
	v_div_fixup_f32 v7, v7, v16, v14
	v_div_fmas_f32 v14, v8, v40, v26
	s_mov_b32 vcc_lo, s4
	s_delay_alu instid0(VALU_DEP_3)
	v_dual_fma_f32 v17, -v41, v27, v43 :: v_dual_sub_f32 v20, v6, v10
	v_mov_b32_dpp v8, v4 quad_perm:[2,3,0,1] row_mask:0xf bank_mask:0xf
	v_div_fmas_f32 v6, v24, v36, v47
	v_add_f32_e32 v12, v12, v7
	v_div_fixup_f32 v7, v14, v19, v11
	s_mov_b32 vcc_lo, s7
	v_div_fixup_f32 v13, v13, v5, v15
	v_div_fmas_f32 v11, v17, v31, v27
	s_delay_alu instid0(VALU_DEP_3)
	v_dual_mul_f32 v14, v20, v20 :: v_dual_add_f32 v2, v2, v7
	v_mul_f32_e32 v15, v5, v20
	v_div_fixup_f32 v17, v6, v16, v18
	v_pk_add_f32 v[6:7], v[4:5], v[8:9]
	v_add_f32_e32 v12, v13, v12
	v_div_fixup_f32 v3, v11, v5, v3
	v_mul_f32_e32 v11, v20, v14
	v_dual_add_f32 v2, v17, v2 :: v_dual_mul_f32 v13, v14, v9
	v_div_scale_f32 v17, null, v7, v7, v15
	s_delay_alu instid0(VALU_DEP_3) | instskip(NEXT) | instid1(VALU_DEP_3)
	v_dual_mul_f32 v18, v11, v9 :: v_dual_mul_f32 v11, v20, v11
	v_dual_add_f32 v2, v3, v2 :: v_dual_mul_f32 v13, v5, v13
	s_delay_alu instid0(VALU_DEP_3) | instskip(SKIP_1) | instid1(VALU_DEP_3)
	v_rcp_f32_e32 v24, v17
	v_mov_b32_dpp v3, v12 quad_perm:[2,3,0,1] row_mask:0xf bank_mask:0xf
	v_dual_mul_f32 v18, v5, v18 :: v_dual_mul_f32 v23, v5, v8
	v_dual_mul_f32 v11, v11, v9 :: v_dual_mul_f32 v26, v9, v9
	s_delay_alu instid0(VALU_DEP_3) | instskip(NEXT) | instid1(TRANS32_DEP_1)
	v_add_f32_e32 v22, v12, v3
	v_fma_f32 v28, -v17, v24, 1.0
	v_sub_f32_e32 v21, v9, v5
	v_fma_f32 v23, v4, v9, -v23
	v_div_scale_f32 v29, null, v7, v7, v13
	s_delay_alu instid0(VALU_DEP_3) | instskip(SKIP_4) | instid1(VALU_DEP_4)
	v_dual_fmac_f32 v24, v28, v24 :: v_dual_mul_f32 v18, v21, v18
	v_mul_f32_e32 v21, 0x40400000, v20
	v_div_scale_f32 v28, vcc_lo, v15, v7, v15
	v_mul_f32_e32 v8, v16, v8
	v_mov_b32_dpp v19, v2 quad_perm:[2,3,0,1] row_mask:0xf bank_mask:0xf
	v_mul_f32_e32 v21, v21, v23
	v_rcp_f32_e32 v23, v29
	v_dual_fma_f32 v27, -v5, v9, v26 :: v_dual_mul_f32 v11, v5, v11
	v_mul_f32_e32 v16, v28, v24
	v_dual_fmac_f32 v8, v26, v4 :: v_dual_mul_f32 v3, v5, v3
	s_delay_alu instid0(VALU_DEP_3) | instskip(SKIP_1) | instid1(TRANS32_DEP_1)
	v_dual_mul_f32 v26, v7, v7 :: v_dual_fmac_f32 v27, v5, v5
	v_add_f32_e32 v2, v2, v19
	v_fma_f32 v19, -v29, v23, 1.0
	v_fma_f32 v4, -v17, v16, v28
	s_delay_alu instid0(VALU_DEP_4) | instskip(SKIP_1) | instid1(VALU_DEP_4)
	v_div_scale_f32 v5, null, v26, v26, v18
	v_dual_mul_f32 v11, v27, v11 :: v_dual_mul_f32 v14, 0x40c00000, v14
	v_fmac_f32_e32 v23, v19, v23
	v_div_scale_f32 v19, s2, v13, v7, v13
	v_fmac_f32_e32 v16, v4, v24
	v_rcp_f32_e32 v4, v5
	v_dual_mul_f32 v20, 4.0, v20 :: v_dual_fma_f32 v3, v12, v9, -v3
	s_delay_alu instid0(VALU_DEP_3) | instskip(NEXT) | instid1(VALU_DEP_3)
	v_dual_mul_f32 v9, v19, v23 :: v_dual_mul_f32 v8, v14, v8
	v_dual_mul_f32 v12, v7, v26 :: v_dual_fma_f32 v14, -v17, v16, v28
	s_delay_alu instid0(VALU_DEP_3) | instskip(NEXT) | instid1(TRANS32_DEP_1)
	v_mul_f32_e32 v3, v20, v3
	v_fma_f32 v20, -v5, v4, 1.0
	s_delay_alu instid0(VALU_DEP_4) | instskip(SKIP_2) | instid1(VALU_DEP_4)
	v_fma_f32 v17, -v29, v9, v19
	v_div_scale_f32 v27, null, v7, v7, v21
	v_div_fmas_f32 v14, v14, v24, v16
	v_fmac_f32_e32 v4, v20, v4
	v_div_scale_f32 v20, s3, v18, v26, v18
	v_fmac_f32_e32 v9, v17, v23
	v_rcp_f32_e32 v16, v27
	v_div_fixup_f32 v14, v14, v7, v15
	s_delay_alu instid0(VALU_DEP_3) | instskip(SKIP_3) | instid1(TRANS32_DEP_1)
	v_mul_f32_e32 v28, v20, v4
	v_div_scale_f32 v17, null, v12, v12, v11
	v_fma_f32 v15, -v29, v9, v19
	v_div_scale_f32 v29, null, v26, v26, v8
	v_fma_f32 v19, -v27, v16, 1.0
	s_delay_alu instid0(VALU_DEP_4) | instskip(SKIP_1) | instid1(VALU_DEP_2)
	v_rcp_f32_e32 v24, v17
	s_mov_b32 vcc_lo, s2
	v_rcp_f32_e32 v31, v29
	v_div_scale_f32 v37, s5, v8, v26, v8
	v_fmac_f32_e32 v16, v19, v16
	v_div_scale_f32 v19, s4, v21, v7, v21
	s_delay_alu instid0(TRANS32_DEP_2) | instskip(NEXT) | instid1(TRANS32_DEP_1)
	v_fma_f32 v30, -v17, v24, 1.0
	v_fma_f32 v34, -v29, v31, 1.0
	v_div_fmas_f32 v9, v15, v23, v9
	v_fma_f32 v15, -v5, v28, v20
	v_div_scale_f32 v35, null, v7, v7, v3
	s_delay_alu instid0(VALU_DEP_4) | instskip(SKIP_3) | instid1(VALU_DEP_4)
	v_dual_fmac_f32 v31, v34, v31 :: v_dual_mul_f32 v23, v19, v16
	v_fmac_f32_e32 v24, v30, v24
	v_div_scale_f32 v30, s2, v11, v12, v11
	v_fmac_f32_e32 v28, v15, v4
	v_dual_fma_f32 v15, -v27, v23, v19 :: v_dual_add_f32 v10, v14, v10
	v_rcp_f32_e32 v34, v35
	v_div_fixup_f32 v9, v9, v7, v13
	s_mov_b32 vcc_lo, s3
	s_delay_alu instid0(VALU_DEP_2) | instskip(SKIP_1) | instid1(VALU_DEP_1)
	v_fmac_f32_e32 v23, v15, v16
	v_dual_mul_f32 v36, v30, v24 :: v_dual_mul_f32 v15, v37, v31
	v_fma_f32 v13, -v17, v36, v30
	s_delay_alu instid0(VALU_DEP_1) | instskip(NEXT) | instid1(VALU_DEP_3)
	v_fmac_f32_e32 v36, v13, v24
	v_fma_f32 v13, -v29, v15, v37
	v_fma_f32 v5, -v5, v28, v20
	v_fma_f32 v20, -v35, v34, 1.0
	s_delay_alu instid0(VALU_DEP_1) | instskip(NEXT) | instid1(VALU_DEP_3)
	v_dual_fmac_f32 v15, v13, v31 :: v_dual_fmac_f32 v34, v20, v34
	v_div_fmas_f32 v5, v5, v4, v28
	v_fma_f32 v4, -v27, v23, v19
	v_div_scale_f32 v19, s3, v3, v7, v3
	s_mov_b32 vcc_lo, s4
	v_div_fixup_f32 v5, v5, v26, v18
	v_div_fmas_f32 v16, v4, v16, v23
	v_dual_fma_f32 v4, -v17, v36, v30 :: v_dual_mul_f32 v17, v19, v34
	s_mov_b32 vcc_lo, s2
	v_mov_b32_dpp v18, v10 row_ror:4 row_mask:0xf bank_mask:0xf
	s_delay_alu instid0(VALU_DEP_2) | instskip(NEXT) | instid1(VALU_DEP_3)
	v_div_fmas_f32 v13, v4, v24, v36
	v_fma_f32 v20, -v35, v17, v19
	v_dual_add_f32 v4, v6, v9 :: v_dual_fma_f32 v6, -v29, v15, v37
	s_mov_b32 vcc_lo, s5
	s_delay_alu instid0(VALU_DEP_3) | instskip(NEXT) | instid1(VALU_DEP_3)
	v_div_fixup_f32 v9, v13, v12, v11
	v_fmac_f32_e32 v17, v20, v34
	s_delay_alu instid0(VALU_DEP_3) | instskip(SKIP_1) | instid1(VALU_DEP_3)
	v_div_fmas_f32 v6, v6, v31, v15
	s_mov_b32 vcc_lo, s3
	v_add_f32_e32 v2, v2, v9
	s_delay_alu instid0(VALU_DEP_3)
	v_fma_f32 v9, -v35, v17, v19
	v_mov_b32_e32 v15, v7
	v_div_fixup_f32 v8, v6, v26, v8
	v_sub_f32_e32 v6, v10, v18
	v_add_f32_e32 v5, v22, v5
	v_div_fmas_f32 v9, v9, v34, v17
	v_div_fixup_f32 v10, v16, v7, v21
	v_cmp_gt_f32_e32 vcc_lo, v42, v25
	v_add_f32_e32 v2, v8, v2
	v_mul_f32_e32 v19, v6, v6
	v_div_fixup_f32 v3, v9, v7, v3
	v_dual_add_f32 v21, v10, v5 :: v_dual_cndmask_b32 v20, v25, v42
	v_mov_b32_dpp v9, v7 row_ror:4 row_mask:0xf bank_mask:0xf
	v_mov_b32_dpp v8, v4 row_ror:4 row_mask:0xf bank_mask:0xf
	v_mov_b32_e32 v5, v7
	v_dual_add_f32 v22, v3, v2 :: v_dual_mul_f32 v2, v6, v19
	s_delay_alu instid0(VALU_DEP_4) | instskip(NEXT) | instid1(VALU_DEP_4)
	v_dual_mul_f32 v27, v7, v6 :: v_dual_mul_f32 v10, v4, v9
	v_mul_f32_e32 v14, v7, v8
	s_delay_alu instid0(VALU_DEP_4) | instskip(NEXT) | instid1(VALU_DEP_4)
	v_pk_add_f32 v[12:13], v[4:5], v[8:9]
	v_dual_mul_f32 v3, v2, v9 :: v_dual_mov_b32 v11, v9
	v_dual_mul_f32 v25, v6, v2 :: v_dual_mov_b32 v2, 0x40400000
	s_delay_alu instid0(VALU_DEP_3) | instskip(NEXT) | instid1(VALU_DEP_3)
	v_div_scale_f32 v28, null, v13, v13, v27
	v_pk_add_f32 v[10:11], v[10:11], v[14:15] neg_lo:[0,1] neg_hi:[0,1]
	v_mul_f32_e32 v5, v19, v9
	s_delay_alu instid0(VALU_DEP_4) | instskip(NEXT) | instid1(VALU_DEP_4)
	v_pk_mul_f32 v[16:17], v[6:7], v[2:3]
	v_rcp_f32_e32 v14, v28
	v_mul_f32_e32 v3, v9, v9
	v_mov_b32_dpp v23, v21 row_ror:4 row_mask:0xf bank_mask:0xf
	v_mov_b32_dpp v24, v22 row_ror:4 row_mask:0xf bank_mask:0xf
	v_mul_f32_e32 v15, v7, v5
	s_delay_alu instid0(VALU_DEP_4) | instskip(SKIP_2) | instid1(VALU_DEP_3)
	v_dual_mul_f32 v5, v25, v9 :: v_dual_fma_f32 v25, -v7, v9, v3
	v_pk_mul_f32 v[10:11], v[16:17], v[10:11]
	v_fma_f32 v17, -v28, v14, 1.0
	v_dual_add_f32 v16, v22, v24 :: v_dual_mul_f32 v5, v7, v5
	s_delay_alu instid0(VALU_DEP_4) | instskip(NEXT) | instid1(VALU_DEP_3)
	v_dual_fmac_f32 v25, v7, v7 :: v_dual_mul_f32 v8, v26, v8
	v_dual_mul_f32 v19, 0x40c00000, v19 :: v_dual_fmac_f32 v14, v17, v14
	v_div_scale_f32 v17, vcc_lo, v27, v13, v27
	s_delay_alu instid0(VALU_DEP_3) | instskip(SKIP_1) | instid1(VALU_DEP_2)
	v_dual_fmac_f32 v8, v3, v4 :: v_dual_mul_f32 v3, v25, v5
	v_dual_mul_f32 v6, 4.0, v6 :: v_dual_mul_f32 v4, v7, v23
	v_dual_mul_f32 v24, v17, v14 :: v_dual_mul_f32 v8, v19, v8
	v_add_f32_e32 v29, v21, v23
	v_div_scale_f32 v22, null, v13, v13, v15
	s_delay_alu instid0(VALU_DEP_3) | instskip(SKIP_2) | instid1(VALU_DEP_3)
	v_dual_fma_f32 v19, -v28, v24, v17 :: v_dual_fma_f32 v9, v21, v9, -v4
	v_div_scale_f32 v23, null, v13, v13, v10
	v_pk_mul_f32 v[4:5], v[12:13], v[12:13]
	v_dual_fmac_f32 v24, v19, v14 :: v_dual_mul_f32 v9, v6, v9
	v_rcp_f32_e32 v7, v22
	s_delay_alu instid0(VALU_DEP_3) | instskip(NEXT) | instid1(VALU_DEP_1)
	v_rcp_f32_e32 v19, v23
	v_dual_mul_f32 v6, v13, v5 :: v_dual_fma_f32 v17, -v28, v24, v17
	s_delay_alu instid0(VALU_DEP_2) | instskip(SKIP_1) | instid1(TRANS32_DEP_2)
	v_div_scale_f32 v38, null, v13, v13, v9
	v_div_scale_f32 v34, null, v5, v5, v8
	v_fma_f32 v4, -v22, v7, 1.0
	s_delay_alu instid0(TRANS32_DEP_1) | instskip(SKIP_2) | instid1(VALU_DEP_4)
	v_fma_f32 v21, -v23, v19, 1.0
	v_div_fmas_f32 v14, v17, v14, v24
	v_div_scale_f32 v17, null, v5, v5, v11
	v_fmac_f32_e32 v7, v4, v7
	v_div_scale_f32 v4, s2, v15, v13, v15
	s_delay_alu instid0(VALU_DEP_3) | instskip(SKIP_4) | instid1(VALU_DEP_3)
	v_rcp_f32_e32 v25, v17
	v_fmac_f32_e32 v19, v21, v19
	v_div_scale_f32 v21, s3, v10, v13, v10
	v_div_scale_f32 v28, null, v6, v6, v3
	v_div_fixup_f32 v14, v14, v13, v27
	v_mul_f32_e32 v30, v21, v19
	v_mul_f32_e32 v24, v4, v7
	s_delay_alu instid0(VALU_DEP_4) | instskip(SKIP_2) | instid1(VALU_DEP_1)
	v_rcp_f32_e32 v27, v28
	v_rcp_f32_e32 v40, v38
	;; [unrolled: 1-line block ×3, first 2 shown]
	v_dual_fma_f32 v31, -v23, v30, v21 :: v_dual_fma_f32 v26, -v22, v24, v4
	s_mov_b32 vcc_lo, s2
	v_add_f32_e32 v14, v14, v18
	s_delay_alu instid0(TRANS32_DEP_3) | instskip(NEXT) | instid1(VALU_DEP_3)
	v_fma_f32 v35, -v28, v27, 1.0
	v_fmac_f32_e32 v24, v26, v7
	v_fma_f32 v26, -v17, v25, 1.0
	s_delay_alu instid0(VALU_DEP_2) | instskip(NEXT) | instid1(VALU_DEP_2)
	v_fma_f32 v4, -v22, v24, v4
	v_fmac_f32_e32 v25, v26, v25
	v_div_scale_f32 v26, s4, v11, v5, v11
	s_delay_alu instid0(VALU_DEP_1) | instskip(NEXT) | instid1(VALU_DEP_4)
	v_dual_mul_f32 v22, v26, v25 :: v_dual_fmac_f32 v27, v35, v27
	v_div_fmas_f32 v4, v4, v7, v24
	v_fma_f32 v24, -v38, v40, 1.0
	v_fmac_f32_e32 v30, v31, v19
	v_div_scale_f32 v31, s5, v3, v6, v3
	v_fma_f32 v35, -v34, v36, 1.0
	s_delay_alu instid0(VALU_DEP_4) | instskip(NEXT) | instid1(VALU_DEP_3)
	v_dual_fma_f32 v37, -v17, v22, v26 :: v_dual_fmac_f32 v40, v24, v40
	v_mul_f32_e32 v39, v31, v27
	s_mov_b32 vcc_lo, s3
	v_div_fixup_f32 v4, v4, v13, v15
	s_delay_alu instid0(VALU_DEP_3) | instskip(SKIP_2) | instid1(VALU_DEP_2)
	v_dual_fmac_f32 v22, v37, v25 :: v_dual_fmac_f32 v36, v35, v36
	v_div_scale_f32 v35, s6, v8, v5, v8
	v_dual_fma_f32 v7, -v23, v30, v21 :: v_dual_fma_f32 v21, -v28, v39, v31
	v_dual_fma_f32 v17, -v17, v22, v26 :: v_dual_mul_f32 v23, v35, v36
	s_delay_alu instid0(VALU_DEP_2) | instskip(NEXT) | instid1(VALU_DEP_3)
	v_fmac_f32_e32 v39, v21, v27
	v_div_fmas_f32 v7, v7, v19, v30
	s_mov_b32 vcc_lo, s4
	v_div_scale_f32 v21, s2, v9, v13, v9
	v_fma_f32 v19, -v34, v23, v35
	v_div_fmas_f32 v17, v17, v25, v22
	v_fma_f32 v22, -v28, v39, v31
	s_mov_b32 vcc_lo, s5
	v_mul_f32_e32 v24, v21, v40
	v_fmac_f32_e32 v23, v19, v36
	v_div_fixup_f32 v7, v7, v13, v10
	v_div_fmas_f32 v19, v22, v27, v39
	s_mov_b32 vcc_lo, s6
	v_fma_f32 v22, -v38, v24, v21
	s_delay_alu instid0(VALU_DEP_2) | instskip(SKIP_2) | instid1(VALU_DEP_3)
	v_div_fixup_f32 v3, v19, v6, v3
	v_add_f32_e32 v6, v12, v4
	v_div_fixup_f32 v4, v17, v5, v11
	v_dual_mov_b32 v19, v13 :: v_dual_add_f32 v3, v16, v3
	v_fma_f32 v15, -v34, v23, v35
	s_delay_alu instid0(VALU_DEP_1)
	v_div_fmas_f32 v15, v15, v36, v23
	s_mov_b32 vcc_lo, s2
	ds_swizzle_b32 v23, v20 offset:swizzle(BROADCAST,32,15)
	v_div_fixup_f32 v8, v15, v5, v8
	v_fmac_f32_e32 v24, v22, v40
	ds_swizzle_b32 v22, v1 offset:swizzle(BROADCAST,32,15)
	v_dual_add_f32 v3, v8, v3 :: v_dual_fma_f32 v11, -v38, v24, v21
	v_mov_b32_dpp v21, v14 row_ror:8 row_mask:0xf bank_mask:0xf
	v_add_f32_e32 v4, v29, v4
	s_delay_alu instid0(VALU_DEP_3) | instskip(NEXT) | instid1(VALU_DEP_3)
	v_div_fmas_f32 v11, v11, v40, v24
	v_sub_f32_e32 v12, v14, v21
	s_delay_alu instid0(VALU_DEP_2) | instskip(NEXT) | instid1(VALU_DEP_4)
	v_div_fixup_f32 v8, v11, v13, v9
	v_add_f32_e32 v4, v7, v4
	s_delay_alu instid0(VALU_DEP_3) | instskip(SKIP_1) | instid1(VALU_DEP_4)
	v_dual_mul_f32 v25, v12, v12 :: v_dual_mov_b32 v7, v13
	v_mov_b32_dpp v9, v13 row_ror:8 row_mask:0xf bank_mask:0xf
	v_add_f32_e32 v24, v8, v3
	v_mov_b32_dpp v8, v6 row_ror:8 row_mask:0xf bank_mask:0xf
	s_delay_alu instid0(VALU_DEP_4) | instskip(SKIP_2) | instid1(VALU_DEP_4)
	v_dual_mul_f32 v3, v12, v25 :: v_dual_mul_f32 v28, v13, v12
	v_mov_b32_dpp v26, v4 row_ror:8 row_mask:0xf bank_mask:0xf
	v_mul_f32_e32 v16, v6, v9
	v_pk_add_f32 v[10:11], v[6:7], v[8:9]
	s_delay_alu instid0(VALU_DEP_4) | instskip(NEXT) | instid1(VALU_DEP_4)
	v_dual_mul_f32 v7, v25, v9 :: v_dual_mul_f32 v29, v12, v3
	v_dual_mul_f32 v3, v3, v9 :: v_dual_add_f32 v31, v4, v26
	s_delay_alu instid0(VALU_DEP_3) | instskip(NEXT) | instid1(VALU_DEP_3)
	v_div_scale_f32 v30, null, v11, v11, v28
	v_mul_f32_e32 v7, v13, v7
	s_delay_alu instid0(VALU_DEP_3) | instskip(SKIP_1) | instid1(VALU_DEP_4)
	v_pk_mul_f32 v[14:15], v[12:13], v[2:3]
	v_dual_mul_f32 v34, v9, v9 :: v_dual_mov_b32 v17, v9
	v_rcp_f32_e32 v3, v30
	v_mul_f32_e32 v18, v13, v8
	v_mul_f32_e32 v8, v5, v8
	v_div_scale_f32 v37, null, v11, v11, v7
	v_mov_b32_dpp v27, v24 row_ror:8 row_mask:0xf bank_mask:0xf
	s_delay_alu instid0(VALU_DEP_4) | instskip(NEXT) | instid1(TRANS32_DEP_1)
	v_pk_add_f32 v[16:17], v[16:17], v[18:19] neg_lo:[0,1] neg_hi:[0,1]
	v_fma_f32 v36, -v30, v3, 1.0
	v_mul_f32_e32 v29, v29, v9
	s_delay_alu instid0(VALU_DEP_3) | instskip(NEXT) | instid1(VALU_DEP_3)
	v_pk_mul_f32 v[14:15], v[14:15], v[16:17]
	v_fmac_f32_e32 v3, v36, v3
	v_mul_f32_e32 v17, 0x40c00000, v25
	s_delay_alu instid0(VALU_DEP_4) | instskip(SKIP_4) | instid1(VALU_DEP_3)
	v_dual_mul_f32 v18, v13, v29 :: v_dual_fmac_f32 v8, v34, v6
	v_fma_f32 v35, -v13, v9, v34
	v_rcp_f32_e32 v29, v37
	v_dual_mul_f32 v6, 4.0, v12 :: v_dual_mul_f32 v12, v13, v26
	v_div_scale_f32 v25, s2, v7, v11, v7
	v_add_f32_e32 v19, v5, v35
	v_div_scale_f32 v35, vcc_lo, v28, v11, v28
	s_delay_alu instid0(TRANS32_DEP_1) | instskip(NEXT) | instid1(VALU_DEP_3)
	v_fma_f32 v5, -v37, v29, 1.0
	v_mul_f32_e32 v16, v19, v18
	s_delay_alu instid0(VALU_DEP_3) | instskip(SKIP_1) | instid1(VALU_DEP_2)
	v_mul_f32_e32 v18, v35, v3
	v_div_scale_f32 v19, null, v11, v11, v14
	v_dual_fmac_f32 v29, v5, v29 :: v_dual_fma_f32 v13, -v30, v18, v35
	v_fma_f32 v9, v4, v9, -v12
	v_pk_mul_f32 v[4:5], v[10:11], v[10:11]
	s_delay_alu instid0(VALU_DEP_4) | instskip(NEXT) | instid1(VALU_DEP_3)
	v_rcp_f32_e32 v4, v19
	v_fmac_f32_e32 v18, v13, v3
	v_mul_f32_e32 v12, v25, v29
	v_dual_mul_f32 v17, v17, v8 :: v_dual_mul_f32 v26, v6, v9
	s_delay_alu instid0(VALU_DEP_3) | instskip(NEXT) | instid1(VALU_DEP_3)
	v_dual_fma_f32 v6, -v30, v18, v35 :: v_dual_mul_f32 v9, v11, v5
	v_fma_f32 v8, -v37, v12, v25
	s_delay_alu instid0(TRANS32_DEP_1) | instskip(SKIP_1) | instid1(VALU_DEP_4)
	v_fma_f32 v13, -v19, v4, 1.0
	v_div_scale_f32 v30, null, v5, v5, v15
	v_div_fmas_f32 v3, v6, v3, v18
	v_div_scale_f32 v6, s3, v14, v11, v14
	s_delay_alu instid0(VALU_DEP_4) | instskip(SKIP_4) | instid1(VALU_DEP_3)
	v_fmac_f32_e32 v4, v13, v4
	v_div_scale_f32 v13, null, v9, v9, v16
	v_fmac_f32_e32 v12, v8, v29
	v_rcp_f32_e32 v8, v30
	v_div_fixup_f32 v3, v3, v11, v28
	v_rcp_f32_e32 v34, v13
	s_mov_b32 vcc_lo, s2
	v_fma_f32 v18, -v37, v12, v25
	s_delay_alu instid0(VALU_DEP_2) | instskip(NEXT) | instid1(TRANS32_DEP_2)
	v_dual_mul_f32 v25, v6, v4 :: v_dual_add_f32 v3, v3, v21
	v_fma_f32 v28, -v30, v8, 1.0
	v_div_scale_f32 v35, null, v5, v5, v17
	s_delay_alu instid0(VALU_DEP_4) | instskip(NEXT) | instid1(VALU_DEP_4)
	v_div_fmas_f32 v12, v18, v29, v12
	v_fma_f32 v18, -v19, v25, v6
	v_fma_f32 v29, -v13, v34, 1.0
	v_fmac_f32_e32 v8, v28, v8
	v_div_scale_f32 v28, s2, v15, v5, v15
	v_div_fixup_f32 v7, v12, v11, v7
	s_delay_alu instid0(VALU_DEP_4) | instskip(SKIP_2) | instid1(VALU_DEP_4)
	v_fmac_f32_e32 v34, v29, v34
	v_div_scale_f32 v29, s4, v16, v9, v16
	v_fmac_f32_e32 v25, v18, v4
	v_dual_mul_f32 v12, v28, v8 :: v_dual_add_f32 v10, v10, v7
	v_rcp_f32_e32 v18, v35
	ds_swizzle_b32 v36, v3 offset:swizzle(BROADCAST,32,15)
	v_dual_fma_f32 v6, -v19, v25, v6 :: v_dual_fma_f32 v7, -v30, v12, v28
	v_mul_f32_e32 v19, v29, v34
	s_mov_b32 vcc_lo, s3
	s_delay_alu instid0(VALU_DEP_2) | instskip(SKIP_3) | instid1(VALU_DEP_3)
	v_div_fmas_f32 v4, v6, v4, v25
	v_div_scale_f32 v25, null, v11, v11, v26
	v_fma_f32 v21, -v35, v18, 1.0
	v_dual_fmac_f32 v12, v7, v8 :: v_dual_fma_f32 v6, -v13, v19, v29
	v_rcp_f32_e32 v37, v25
	ds_swizzle_b32 v7, v11 offset:swizzle(BROADCAST,32,15)
	v_dual_fmac_f32 v18, v21, v18 :: v_dual_fma_f32 v28, -v30, v12, v28
	v_div_scale_f32 v21, s3, v17, v5, v17
	v_fmac_f32_e32 v19, v6, v34
	ds_swizzle_b32 v6, v10 offset:swizzle(BROADCAST,32,15)
	s_mov_b32 vcc_lo, s2
	v_mul_f32_e32 v30, v21, v18
	v_div_fmas_f32 v28, v28, v8, v12
	v_fma_f32 v8, -v13, v19, v29
	v_fma_f32 v13, -v25, v37, 1.0
	s_mov_b32 vcc_lo, s4
	v_div_scale_f32 v29, s2, v26, v11, v26
	v_div_fixup_f32 v15, v28, v5, v15
	s_delay_alu instid0(VALU_DEP_3)
	v_fmac_f32_e32 v37, v13, v37
	v_div_fmas_f32 v19, v8, v34, v19
	s_wait_dscnt 0x2
	v_sub_f32_e32 v8, v3, v36
	v_dual_fma_f32 v12, -v35, v30, v21 :: v_dual_add_f32 v3, v24, v27
	s_mov_b32 vcc_lo, s3
	v_div_fixup_f32 v9, v19, v9, v16
	s_delay_alu instid0(VALU_DEP_2)
	v_dual_mul_f32 v19, v29, v37 :: v_dual_fmac_f32 v30, v12, v18
	v_div_fixup_f32 v4, v4, v11, v14
	s_wait_dscnt 0x0
	v_pk_add_f32 v[12:13], v[10:11], v[6:7]
	v_dual_add_f32 v3, v3, v9 :: v_dual_mul_f32 v14, v10, v7
	v_fma_f32 v16, -v35, v30, v21
	v_mul_f32_e32 v21, v11, v8
	s_delay_alu instid0(VALU_DEP_2) | instskip(SKIP_1) | instid1(VALU_DEP_3)
	v_div_fmas_f32 v16, v16, v18, v30
	v_fma_f32 v18, -v25, v19, v29
	v_div_scale_f32 v24, null, v13, v13, v21
	v_cmp_lt_f32_e32 vcc_lo, v1, v22
	s_delay_alu instid0(VALU_DEP_4) | instskip(NEXT) | instid1(VALU_DEP_4)
	v_div_fixup_f32 v9, v16, v5, v17
	v_fmac_f32_e32 v19, v18, v37
	s_delay_alu instid0(VALU_DEP_4) | instskip(SKIP_1) | instid1(VALU_DEP_3)
	v_rcp_f32_e32 v18, v24
	v_dual_mul_f32 v16, v11, v6 :: v_dual_mov_b32 v17, v11
	v_dual_cndmask_b32 v1, v22, v1, vcc_lo :: v_dual_add_f32 v27, v9, v3
	v_add_f32_e32 v22, v31, v15
	v_dual_fma_f32 v3, -v25, v19, v29 :: v_dual_mul_f32 v25, v8, v8
	s_mov_b32 vcc_lo, s2
	s_delay_alu instid0(TRANS32_DEP_1)
	v_fma_f32 v9, -v24, v18, 1.0
	v_cmp_gt_f32_e64 s2, v20, v23
	v_add_f32_e32 v4, v4, v22
	v_mul_f32_e32 v28, v8, v25
	v_div_fmas_f32 v19, v3, v37, v19
	v_mul_f32_e32 v3, v25, v7
	v_fmac_f32_e32 v18, v9, v18
	v_div_scale_f32 v29, vcc_lo, v21, v13, v21
	s_delay_alu instid0(VALU_DEP_3) | instskip(SKIP_2) | instid1(VALU_DEP_4)
	v_dual_mov_b32 v9, v11 :: v_dual_mul_f32 v30, v11, v3
	v_dual_mul_f32 v3, v28, v7 :: v_dual_mov_b32 v15, v7
	v_div_fixup_f32 v19, v19, v11, v26
	v_mul_f32_e32 v26, v29, v18
	s_delay_alu instid0(VALU_DEP_4) | instskip(NEXT) | instid1(VALU_DEP_4)
	v_div_scale_f32 v31, null, v13, v13, v30
	v_pk_mul_f32 v[2:3], v[8:9], v[2:3]
	v_pk_add_f32 v[14:15], v[14:15], v[16:17] neg_lo:[0,1] neg_hi:[0,1]
	v_cndmask_b32_e64 v16, v23, v20, s2
	s_delay_alu instid0(VALU_DEP_4) | instskip(SKIP_1) | instid1(VALU_DEP_3)
	v_rcp_f32_e32 v9, v31
	v_dual_add_f32 v17, v19, v27 :: v_dual_fma_f32 v19, -v24, v26, v29
	v_pk_mul_f32 v[2:3], v[2:3], v[14:15]
	v_pk_mul_f32 v[14:15], v[12:13], v[12:13]
	v_mul_f32_e32 v27, v8, v28
	ds_swizzle_b32 v23, v4 offset:swizzle(BROADCAST,32,15)
	v_fma_f32 v20, -v31, v9, 1.0
	v_div_scale_f32 v22, null, v13, v13, v2
	v_fmac_f32_e32 v26, v19, v18
	v_div_scale_f32 v19, s2, v30, v13, v30
	s_delay_alu instid0(VALU_DEP_3) | instskip(SKIP_1) | instid1(VALU_DEP_3)
	v_rcp_f32_e32 v14, v22
	v_fmac_f32_e32 v9, v20, v9
	v_dual_fma_f32 v24, -v24, v26, v29 :: v_dual_mul_f32 v28, v13, v15
	v_div_scale_f32 v37, s3, v2, v13, v2
	s_delay_alu instid0(VALU_DEP_3) | instskip(NEXT) | instid1(TRANS32_DEP_1)
	v_mul_f32_e32 v29, v19, v9
	v_fma_f32 v34, -v22, v14, 1.0
	v_mul_f32_e32 v35, v7, v7
	v_div_fmas_f32 v18, v24, v18, v26
	v_dual_mul_f32 v26, v27, v7 :: v_dual_mul_f32 v25, 0x40c00000, v25
	s_delay_alu instid0(VALU_DEP_3) | instskip(SKIP_2) | instid1(VALU_DEP_3)
	v_dual_fmac_f32 v14, v34, v14 :: v_dual_fma_f32 v27, -v11, v7, v35
	v_fma_f32 v24, -v31, v29, v19
	v_div_scale_f32 v34, null, v15, v15, v3
	v_dual_mul_f32 v8, 4.0, v8 :: v_dual_add_f32 v27, v5, v27
	s_delay_alu instid0(VALU_DEP_3) | instskip(SKIP_1) | instid1(VALU_DEP_4)
	v_dual_fmac_f32 v29, v24, v9 :: v_dual_mul_f32 v26, v11, v26
	v_mul_f32_e32 v5, v5, v6
	v_rcp_f32_e32 v6, v34
	s_wait_dscnt 0x0
	v_mul_f32_e32 v11, v11, v23
	v_fma_f32 v19, -v31, v29, v19
	v_mul_f32_e32 v24, v27, v26
	v_fmac_f32_e32 v5, v35, v10
	v_mul_f32_e32 v26, v37, v14
	v_div_scale_f32 v35, s4, v3, v15, v3
	s_delay_alu instid0(VALU_DEP_4) | instskip(SKIP_1) | instid1(VALU_DEP_4)
	v_div_scale_f32 v10, null, v28, v28, v24
	v_fma_f32 v27, -v34, v6, 1.0
	v_dual_mul_f32 v5, v25, v5 :: v_dual_fma_f32 v25, -v22, v26, v37
	s_delay_alu instid0(VALU_DEP_3) | instskip(NEXT) | instid1(VALU_DEP_2)
	v_rcp_f32_e32 v31, v10
	v_dual_fma_f32 v7, v4, v7, -v11 :: v_dual_fmac_f32 v6, v27, v6
	s_delay_alu instid0(VALU_DEP_2)
	v_div_scale_f32 v27, null, v15, v15, v5
	ds_swizzle_b32 v20, v17 offset:swizzle(BROADCAST,32,15)
	v_mul_f32_e32 v7, v8, v7
	v_fma_f32 v38, -v10, v31, 1.0
	v_rcp_f32_e32 v11, v27
	v_fmac_f32_e32 v26, v25, v14
	v_mul_f32_e32 v25, v35, v6
	v_div_scale_f32 v40, null, v13, v13, v7
	v_fmac_f32_e32 v31, v38, v31
	v_div_scale_f32 v8, s5, v24, v28, v24
	s_delay_alu instid0(TRANS32_DEP_1) | instskip(NEXT) | instid1(VALU_DEP_4)
	v_fma_f32 v38, -v27, v11, 1.0
	v_rcp_f32_e32 v42, v40
	s_delay_alu instid0(VALU_DEP_2) | instskip(SKIP_1) | instid1(VALU_DEP_2)
	v_dual_fma_f32 v39, -v34, v25, v35 :: v_dual_mul_f32 v41, v8, v31
	s_mov_b32 vcc_lo, s2
	v_fmac_f32_e32 v11, v38, v11
	v_div_scale_f32 v38, s6, v5, v15, v5
	v_div_fmas_f32 v9, v19, v9, v29
	v_fmac_f32_e32 v25, v39, v6
	s_mov_b32 vcc_lo, s3
	s_delay_alu instid0(VALU_DEP_3)
	v_mul_f32_e32 v29, v38, v11
	v_fma_f32 v19, -v22, v26, v37
	v_fma_f32 v37, -v40, v42, 1.0
	s_wait_dscnt 0x0
	v_dual_fma_f32 v22, -v10, v41, v8 :: v_dual_add_f32 v17, v17, v20
	v_add_f32_e32 v4, v4, v23
	v_div_fixup_f32 v18, v18, v13, v21
	s_delay_alu instid0(VALU_DEP_3)
	v_dual_fmac_f32 v42, v37, v42 :: v_dual_fmac_f32 v41, v22, v31
	v_fma_f32 v22, -v27, v29, v38
	v_div_fmas_f32 v14, v19, v14, v26
	v_div_scale_f32 v26, s2, v7, v13, v7
	v_fma_f32 v19, -v34, v25, v35
	v_fma_f32 v8, -v10, v41, v8
	s_mov_b32 vcc_lo, s4
	s_delay_alu instid0(VALU_DEP_3)
	v_mul_f32_e32 v10, v26, v42
	v_div_fixup_f32 v9, v9, v13, v30
	v_div_fmas_f32 v6, v19, v6, v25
	s_mov_b32 vcc_lo, s5
	v_div_fixup_f32 v2, v14, v13, v2
	v_fma_f32 v19, -v40, v10, v26
	s_delay_alu instid0(VALU_DEP_3) | instskip(NEXT) | instid1(VALU_DEP_2)
	v_div_fixup_f32 v3, v6, v15, v3
	v_dual_fmac_f32 v10, v19, v42 :: v_dual_fmac_f32 v29, v22, v11
	s_delay_alu instid0(VALU_DEP_2) | instskip(NEXT) | instid1(VALU_DEP_2)
	v_add_f32_e32 v3, v4, v3
	v_fma_f32 v6, -v40, v10, v26
	s_delay_alu instid0(VALU_DEP_3) | instskip(SKIP_2) | instid1(VALU_DEP_2)
	v_fma_f32 v20, -v27, v29, v38
	v_div_fmas_f32 v8, v8, v31, v41
	s_mov_b32 vcc_lo, s6
	v_div_fmas_f32 v11, v20, v11, v29
	s_delay_alu instid0(VALU_DEP_2)
	v_div_fixup_f32 v8, v8, v28, v24
	s_mov_b32 vcc_lo, s2
	s_mov_b32 s2, exec_lo
	v_div_fmas_f32 v6, v6, v42, v10
	v_div_fixup_f32 v5, v11, v15, v5
	v_add_f32_e32 v8, v17, v8
	s_delay_alu instid0(VALU_DEP_1) | instskip(NEXT) | instid1(VALU_DEP_4)
	v_add_f32_e32 v4, v5, v8
	v_div_fixup_f32 v5, v6, v13, v7
	v_dual_mov_b32 v6, 0 :: v_dual_add_f32 v7, v18, v36
	v_dual_add_f32 v8, v12, v9 :: v_dual_add_f32 v2, v2, v3
	s_delay_alu instid0(VALU_DEP_3)
	v_add_f32_e32 v3, v5, v4
	ds_bpermute_b32 v31, v6, v13 offset:124
	ds_bpermute_b32 v28, v6, v1 offset:124
	ds_bpermute_b32 v29, v6, v16 offset:124
	ds_bpermute_b32 v30, v6, v7 offset:124
	ds_bpermute_b32 v14, v6, v8 offset:124
	ds_bpermute_b32 v15, v6, v2 offset:124
	ds_bpermute_b32 v34, v6, v3 offset:124
	v_mbcnt_lo_u32_b32 v1, -1, 0
	s_delay_alu instid0(VALU_DEP_1)
	v_cmpx_eq_u32_e32 0, v1
	s_cbranch_execz .LBB9_6
; %bb.5:
	v_lshrrev_b32_e32 v2, 5, v0
	s_delay_alu instid0(VALU_DEP_1)
	v_mul_u32_u24_e32 v2, 28, v2
	s_wait_dscnt 0x5
	ds_store_2addr_b32 v2, v31, v28 offset0:168 offset1:169
	s_wait_dscnt 0x4
	ds_store_2addr_b32 v2, v29, v30 offset0:170 offset1:171
	;; [unrolled: 2-line block ×3, first 2 shown]
	s_wait_dscnt 0x3
	ds_store_b32 v2, v34 offset:696
.LBB9_6:
	s_or_b32 exec_lo, exec_lo, s2
	s_delay_alu instid0(SALU_CYCLE_1)
	s_mov_b32 s8, exec_lo
	s_wait_dscnt 0x0
	s_barrier_signal -1
	s_barrier_wait -1
	v_cmpx_gt_u32_e32 32, v0
	s_cbranch_execz .LBB9_8
; %bb.7:
	v_and_b32_e32 v2, 7, v1
	s_delay_alu instid0(VALU_DEP_1) | instskip(SKIP_1) | instid1(VALU_DEP_1)
	v_cmp_ne_u32_e32 vcc_lo, 7, v2
	v_add_co_ci_u32_e64 v10, null, 0, v1, vcc_lo
	v_lshlrev_b32_e32 v13, 2, v10
	v_mul_u32_u24_e32 v3, 28, v2
	v_cmp_gt_u32_e32 vcc_lo, 6, v2
	ds_load_2addr_b32 v[4:5], v3 offset0:168 offset1:171
	ds_load_b32 v23, v3 offset:696
	ds_load_2addr_b32 v[6:7], v3 offset0:172 offset1:173
	ds_load_2addr_b32 v[8:9], v3 offset0:169 offset1:170
	v_cndmask_b32_e64 v15, 0, 2, vcc_lo
	v_lshlrev_b32_e32 v14, 2, v1
	v_mov_b32_e32 v12, 0x40400000
	v_mov_b64_e32 v[2:3], 0x40c0000040800000
	s_delay_alu instid0(VALU_DEP_4)
	v_add_lshl_u32 v1, v15, v1, 2
	s_wait_dscnt 0x3
	ds_bpermute_b32 v11, v13, v4
	ds_bpermute_b32 v10, v13, v5
	s_wait_dscnt 0x3
	ds_bpermute_b32 v15, v13, v6
	s_wait_dscnt 0x3
	ds_bpermute_b32 v29, v13, v9
	ds_bpermute_b32 v34, v13, v8
	;; [unrolled: 1-line block ×3, first 2 shown]
	v_dual_mov_b32 v16, v5 :: v_dual_bitop2_b32 v42, 16, v14 bitop3:0x54
	v_mul_f32_e32 v19, v4, v4
	ds_bpermute_b32 v14, v13, v7
	v_dual_mov_b32 v17, v4 :: v_dual_mov_b32 v20, v4
	v_dual_mov_b32 v21, v6 :: v_dual_mov_b32 v18, v4
	;; [unrolled: 1-line block ×3, first 2 shown]
	s_wait_dscnt 0x6
	v_dual_mov_b32 v13, v4 :: v_dual_mov_b32 v28, v11
	v_sub_f32_e32 v36, v4, v11
	s_wait_dscnt 0x5
	v_pk_add_f32 v[26:27], v[10:11], v[16:17] neg_lo:[0,1] neg_hi:[0,1]
	s_wait_dscnt 0x3
	v_cmp_lt_f32_e32 vcc_lo, v9, v29
	v_pk_add_f32 v[16:17], v[16:17], v[10:11]
	v_pk_mul_f32 v[30:31], v[10:11], v[10:11]
	v_dual_mov_b32 v10, v15 :: v_dual_mov_b32 v30, v11
	v_cndmask_b32_e32 v37, v9, v29, vcc_lo
	s_wait_dscnt 0x2
	v_cmp_lt_f32_e32 vcc_lo, v34, v8
	s_wait_dscnt 0x1
	v_dual_mov_b32 v27, v17 :: v_dual_add_f32 v40, v23, v24
	s_wait_dscnt 0x0
	v_dual_fma_f32 v23, -v4, v11, v19 :: v_dual_add_f32 v24, v7, v14
	v_dual_mul_f32 v16, v6, v11 :: v_dual_cndmask_b32 v38, v8, v34, vcc_lo
	v_dual_mov_b32 v9, v15 :: v_dual_mul_f32 v8, v26, v11
	v_mov_b32_e32 v29, v17
	v_pk_mul_f32 v[34:35], v[26:27], v[26:27]
	v_pk_mul_f32 v[6:7], v[6:7], v[30:31] op_sel:[1,0] op_sel_hi:[0,1]
	v_dual_add_f32 v39, v31, v23 :: v_dual_mov_b32 v35, v17
	v_div_scale_f32 v23, null, v17, v17, v8
	v_pk_fma_f32 v[20:21], v[20:21], v[10:11], v[16:17] op_sel_hi:[1,1,0] neg_lo:[0,0,1] neg_hi:[0,0,1]
	s_delay_alu instid0(VALU_DEP_4)
	v_pk_fma_f32 v[30:31], v[4:5], v[14:15], v[6:7] neg_lo:[0,0,1] neg_hi:[0,0,1]
	v_pk_fma_f32 v[6:7], v[18:19], v[14:15], v[6:7]
	v_mul_f32_e32 v10, v26, v34
	v_rcp_f32_e32 v44, v23
	ds_bpermute_b32 v43, v1, v37
	v_dual_mov_b32 v27, v34 :: v_dual_mov_b32 v31, v7
	v_mul_f32_e32 v16, v4, v10
	v_div_scale_f32 v45, vcc_lo, v8, v17, v8
	v_fma_f32 v5, -v23, v44, 1.0
	v_mul_f32_e32 v10, v26, v10
	s_delay_alu instid0(VALU_DEP_4) | instskip(SKIP_2) | instid1(VALU_DEP_4)
	v_pk_mul_f32 v[14:15], v[16:17], v[28:29]
	v_mov_b32_e32 v21, v11
	v_pk_mul_f32 v[6:7], v[26:27], v[2:3]
	v_dual_fmac_f32 v44, v5, v44 :: v_dual_mul_f32 v16, v4, v10
	s_delay_alu instid0(VALU_DEP_4) | instskip(SKIP_1) | instid1(VALU_DEP_4)
	v_dual_mul_f32 v19, v36, v14 :: v_dual_mov_b32 v14, v11
	v_pk_mul_f32 v[4:5], v[12:13], v[26:27]
	v_pk_mul_f32 v[6:7], v[6:7], v[30:31]
	ds_bpermute_b32 v41, v1, v38
	v_pk_mul_f32 v[10:11], v[16:17], v[14:15]
	ds_bpermute_b32 v16, v1, v17
	v_mul_f32_e32 v18, v45, v44
	s_wait_dscnt 0x2
	v_cmp_lt_f32_e64 s2, v37, v43
	v_pk_mul_f32 v[4:5], v[4:5], v[20:21]
	v_div_scale_f32 v14, null, v15, v15, v7
	s_delay_alu instid0(VALU_DEP_3) | instskip(SKIP_1) | instid1(VALU_DEP_4)
	v_dual_fma_f32 v12, -v23, v18, v45 :: v_dual_cndmask_b32 v43, v37, v43, s2
	v_div_scale_f32 v21, null, v17, v17, v6
	v_div_scale_f32 v27, null, v17, v17, v5
	s_delay_alu instid0(VALU_DEP_3) | instskip(NEXT) | instid1(VALU_DEP_3)
	v_fmac_f32_e32 v18, v12, v44
	v_rcp_f32_e32 v30, v21
	v_div_scale_f32 v20, s2, v7, v15, v7
	s_delay_alu instid0(VALU_DEP_3) | instskip(NEXT) | instid1(VALU_DEP_2)
	v_rcp_f32_e32 v31, v27
	v_fma_f32 v12, -v23, v18, v45
	v_div_scale_f32 v26, s3, v6, v17, v6
	s_wait_dscnt 0x0
	v_mov_b32_e32 v23, v16
	v_fma_f32 v37, -v21, v30, 1.0
	v_div_fmas_f32 v12, v12, v44, v18
	v_mul_f32_e32 v44, v39, v10
	v_fma_f32 v39, -v27, v31, 1.0
	v_div_scale_f32 v28, s4, v5, v17, v5
	s_delay_alu instid0(VALU_DEP_4) | instskip(SKIP_2) | instid1(VALU_DEP_3)
	v_div_fixup_f32 v34, v12, v17, v8
	v_div_scale_f32 v8, null, v17, v17, v4
	v_div_scale_f32 v46, null, v11, v11, v44
	v_pk_add_f32 v[12:13], v[22:23], v[34:35]
	v_div_scale_f32 v22, null, v15, v15, v19
	v_rcp_f32_e32 v23, v14
	v_rcp_f32_e32 v34, v8
	ds_bpermute_b32 v18, v1, v12
	v_rcp_f32_e32 v36, v22
	v_dual_fmac_f32 v30, v37, v30 :: v_dual_fmac_f32 v31, v39, v31
	v_div_scale_f32 v29, s5, v4, v17, v4
	v_fma_f32 v10, -v14, v23, 1.0
	v_fma_f32 v45, -v8, v34, 1.0
	s_delay_alu instid0(TRANS32_DEP_1) | instskip(SKIP_1) | instid1(VALU_DEP_3)
	v_fma_f32 v48, -v22, v36, 1.0
	v_div_scale_f32 v35, vcc_lo, v19, v15, v19
	v_dual_fmac_f32 v23, v10, v23 :: v_dual_fmac_f32 v34, v45, v34
	s_delay_alu instid0(VALU_DEP_3)
	v_dual_fmac_f32 v36, v48, v36 :: v_dual_mul_f32 v39, v26, v30
	v_rcp_f32_e32 v10, v46
	v_div_scale_f32 v47, s6, v44, v11, v44
	s_wait_dscnt 0x0
	v_dual_sub_f32 v18, v18, v12 :: v_dual_mul_f32 v37, v20, v23
	v_dual_mul_f32 v45, v28, v31 :: v_dual_mul_f32 v49, v29, v34
	s_delay_alu instid0(TRANS32_DEP_1) | instskip(NEXT) | instid1(VALU_DEP_3)
	v_fma_f32 v51, -v46, v10, 1.0
	v_mul_f32_e32 v48, v18, v16
	s_delay_alu instid0(VALU_DEP_4) | instskip(NEXT) | instid1(VALU_DEP_4)
	v_dual_mul_f32 v50, v35, v36 :: v_dual_fma_f32 v53, -v14, v37, v20
	v_dual_fma_f32 v54, -v21, v39, v26 :: v_dual_fma_f32 v55, -v27, v45, v28
	s_delay_alu instid0(VALU_DEP_3) | instskip(NEXT) | instid1(VALU_DEP_3)
	v_div_scale_f32 v52, null, v13, v13, v48
	v_dual_fma_f32 v56, -v8, v49, v29 :: v_dual_fma_f32 v58, -v22, v50, v35
	s_delay_alu instid0(VALU_DEP_4) | instskip(NEXT) | instid1(VALU_DEP_3)
	v_dual_fmac_f32 v10, v51, v10 :: v_dual_fmac_f32 v37, v53, v23
	v_rcp_f32_e32 v57, v52
	v_dual_fmac_f32 v39, v54, v30 :: v_dual_fmac_f32 v45, v55, v31
	s_delay_alu instid0(VALU_DEP_3) | instskip(NEXT) | instid1(VALU_DEP_3)
	v_dual_fmac_f32 v49, v56, v34 :: v_dual_fmac_f32 v50, v58, v36
	v_dual_mul_f32 v53, v47, v10 :: v_dual_fma_f32 v14, -v14, v37, v20
	s_delay_alu instid0(TRANS32_DEP_1) | instskip(SKIP_1) | instid1(VALU_DEP_4)
	v_fma_f32 v51, -v52, v57, 1.0
	v_div_scale_f32 v54, s7, v48, v13, v48
	v_dual_fma_f32 v20, -v21, v39, v26 :: v_dual_fma_f32 v21, -v22, v50, v35
	v_fma_f32 v27, -v27, v45, v28
	s_delay_alu instid0(VALU_DEP_4) | instskip(SKIP_1) | instid1(VALU_DEP_4)
	v_fmac_f32_e32 v57, v51, v57
	v_fma_f32 v28, -v8, v49, v29
	v_div_fmas_f32 v21, v21, v36, v50
	s_mov_b32 vcc_lo, s6
	s_delay_alu instid0(VALU_DEP_3)
	v_mul_f32_e32 v22, v54, v57
	v_fma_f32 v51, -v46, v53, v47
	ds_bpermute_b32 v50, v42, v43
	v_div_fixup_f32 v8, v21, v15, v19
	ds_bpermute_b32 v21, v42, v13
	v_fma_f32 v26, -v52, v22, v54
	v_fmac_f32_e32 v53, v51, v10
	v_mul_f32_e32 v19, v18, v18
	v_pk_add_f32 v[8:9], v[24:25], v[8:9]
	s_delay_alu instid0(VALU_DEP_4) | instskip(NEXT) | instid1(VALU_DEP_4)
	v_fmac_f32_e32 v22, v26, v57
	v_fma_f32 v29, -v46, v53, v47
	s_delay_alu instid0(VALU_DEP_1) | instskip(SKIP_1) | instid1(VALU_DEP_3)
	v_div_fmas_f32 v29, v29, v10, v53
	s_mov_b32 vcc_lo, s2
	v_fma_f32 v10, -v52, v22, v54
	v_div_fmas_f32 v35, v14, v23, v37
	s_mov_b32 vcc_lo, s3
	v_div_fixup_f32 v29, v29, v11, v44
	v_div_fmas_f32 v46, v20, v30, v39
	s_mov_b32 vcc_lo, s7
	v_mov_b32_e32 v20, v13
	v_div_fmas_f32 v47, v10, v57, v22
	s_mov_b32 vcc_lo, s4
	v_pk_mul_f32 v[22:23], v[16:17], v[16:17] op_sel_hi:[1,0]
	v_div_fmas_f32 v10, v27, v31, v45
	s_mov_b32 vcc_lo, s5
	s_wait_dscnt 0x0
	v_dual_mul_f32 v36, v21, v21 :: v_dual_mul_f32 v31, 0x40400000, v18
	v_mul_f32_e32 v44, v18, v19
	v_div_fixup_f32 v5, v10, v17, v5
	v_mov_b32_e32 v10, v17
	v_div_fmas_f32 v14, v28, v34, v49
	v_cmp_lt_f32_e32 vcc_lo, v41, v38
	v_dual_mov_b32 v28, v13 :: v_dual_add_f32 v29, v40, v29
	v_div_fixup_f32 v35, v35, v15, v7
	s_delay_alu instid0(VALU_DEP_4) | instskip(SKIP_3) | instid1(VALU_DEP_4)
	v_div_fixup_f32 v4, v14, v17, v4
	v_dual_cndmask_b32 v45, v38, v41 :: v_dual_mov_b32 v14, v17
	v_pk_mul_f32 v[38:39], v[12:13], v[20:21] op_sel:[1,0]
	v_dual_mov_b32 v34, v13 :: v_dual_mov_b32 v37, v13
	v_pk_add_f32 v[4:5], v[4:5], v[8:9]
	v_dual_sub_f32 v8, v15, v23 :: v_dual_sub_f32 v23, v17, v16
	s_delay_alu instid0(VALU_DEP_4)
	v_dual_mov_b32 v9, v16 :: v_dual_mov_b32 v41, v38
	v_mov_b32_e32 v24, v39
	ds_bpermute_b32 v25, v1, v5
	v_div_fixup_f32 v39, v46, v17, v6
	v_mul_f32_e32 v6, v17, v44
	v_pk_fma_f32 v[26:27], v[16:17], v[16:17], v[8:9] op_sel_hi:[1,0,0]
	v_mov_b32_e32 v11, v5
	v_mul_f32_e32 v40, v17, v19
	v_dual_mov_b32 v27, v13 :: v_dual_mov_b32 v30, v13
	v_mul_f32_e32 v46, v6, v16
	v_pk_mul_f32 v[6:7], v[18:19], v[2:3]
	v_mul_f32_e32 v18, v18, v44
	v_div_fixup_f32 v47, v47, v13, v48
	ds_bpermute_b32 v49, v42, v45
	v_sub_f32_e32 v54, v13, v21
	s_wait_dscnt 0x1
	v_mov_b32_e32 v8, v25
	s_delay_alu instid0(VALU_DEP_1) | instskip(SKIP_2) | instid1(VALU_DEP_3)
	v_pk_mul_f32 v[8:9], v[10:11], v[8:9]
	v_pk_fma_f32 v[10:11], v[12:13], v[20:21], v[24:25] op_sel:[1,0,0] neg_lo:[0,0,1] neg_hi:[0,0,1]
	v_dual_mul_f32 v20, v23, v46 :: v_dual_mov_b32 v11, v21
	v_dual_sub_f32 v8, v8, v9 :: v_dual_mul_f32 v9, v17, v18
	v_add_f32_e32 v17, v35, v29
	s_delay_alu instid0(VALU_DEP_3) | instskip(NEXT) | instid1(VALU_DEP_3)
	v_div_scale_f32 v23, null, v38, v38, v20
	v_mul_f32_e32 v29, v31, v8
	s_delay_alu instid0(VALU_DEP_4) | instskip(NEXT) | instid1(VALU_DEP_3)
	v_dual_mul_f32 v8, v40, v16 :: v_dual_mul_f32 v40, v9, v16
	v_rcp_f32_e32 v9, v23
	v_pk_add_f32 v[10:11], v[36:37], v[10:11]
	v_add_f32_e32 v37, v39, v17
	s_delay_alu instid0(VALU_DEP_3) | instskip(SKIP_2) | instid1(TRANS32_DEP_1)
	v_div_scale_f32 v35, null, v13, v13, v8
	v_pk_mul_f32 v[18:19], v[26:27], v[40:41]
	v_div_scale_f32 v26, s2, v20, v38, v20
	v_fma_f32 v17, -v23, v9, 1.0
	s_delay_alu instid0(VALU_DEP_4) | instskip(NEXT) | instid1(VALU_DEP_3)
	v_rcp_f32_e32 v39, v35
	v_div_scale_f32 v44, null, v19, v19, v18
	v_div_scale_f32 v51, s3, v8, v13, v8
	s_delay_alu instid0(VALU_DEP_3) | instskip(SKIP_2) | instid1(TRANS32_DEP_1)
	v_fmac_f32_e32 v9, v17, v9
	v_div_scale_f32 v31, null, v13, v13, v29
	v_div_scale_f32 v40, vcc_lo, v29, v13, v29
	v_fma_f32 v17, -v35, v39, 1.0
	s_delay_alu instid0(VALU_DEP_3) | instskip(SKIP_2) | instid1(VALU_DEP_2)
	v_rcp_f32_e32 v27, v31
	v_rcp_f32_e32 v46, v44
	v_div_scale_f32 v53, s4, v18, v19, v18
	v_fmac_f32_e32 v39, v17, v39
	s_delay_alu instid0(TRANS32_DEP_2) | instskip(NEXT) | instid1(TRANS32_DEP_1)
	v_fma_f32 v24, -v31, v27, 1.0
	v_fma_f32 v17, -v44, v46, 1.0
	s_delay_alu instid0(VALU_DEP_2) | instskip(NEXT) | instid1(VALU_DEP_2)
	v_dual_fmac_f32 v27, v24, v27 :: v_dual_mul_f32 v41, v26, v9
	v_dual_fmac_f32 v46, v17, v46 :: v_dual_mov_b32 v17, v22
	s_delay_alu instid0(VALU_DEP_2) | instskip(NEXT) | instid1(VALU_DEP_2)
	v_dual_mul_f32 v52, v40, v27 :: v_dual_fma_f32 v24, -v23, v41, v26
	v_pk_mul_f32 v[16:17], v[4:5], v[16:17]
	s_delay_alu instid0(VALU_DEP_2)
	v_dual_fma_f32 v48, -v31, v52, v40 :: v_dual_fmac_f32 v41, v24, v9
	ds_bpermute_b32 v24, v1, v4
	v_add_f32_e32 v47, v12, v47
	ds_bpermute_b32 v1, v1, v37
	v_fmac_f32_e32 v52, v48, v27
	v_mul_f32_e32 v48, v51, v39
	v_fma_f32 v12, -v23, v41, v26
	v_dual_mov_b32 v23, v11 :: v_dual_mov_b32 v26, v21
	s_delay_alu instid0(VALU_DEP_4) | instskip(NEXT) | instid1(VALU_DEP_1)
	v_fma_f32 v22, -v31, v52, v40
	v_div_fmas_f32 v22, v22, v27, v52
	s_mov_b32 vcc_lo, s2
	v_dual_mul_f32 v27, v53, v46 :: v_dual_fma_f32 v52, -v35, v48, v51
	v_div_fmas_f32 v9, v12, v9, v41
	ds_bpermute_b32 v12, v42, v47
	s_mov_b32 vcc_lo, s4
	s_wait_dscnt 0x2
	v_pk_add_f32 v[4:5], v[4:5], v[24:25]
	v_pk_fma_f32 v[40:41], v[14:15], v[24:25], v[16:17]
	v_div_fixup_f32 v20, v9, v38, v20
	v_pk_fma_f32 v[14:15], v[14:15], v[24:25], v[16:17] neg_lo:[0,0,1] neg_hi:[0,0,1]
	v_div_fixup_f32 v9, v22, v13, v29
	s_delay_alu instid0(VALU_DEP_4) | instskip(NEXT) | instid1(VALU_DEP_4)
	v_dual_fma_f32 v22, -v44, v27, v53 :: v_dual_mov_b32 v15, v41
	v_add_f32_e32 v31, v4, v20
	s_wait_dscnt 0x1
	v_dual_fmac_f32 v48, v52, v39 :: v_dual_add_f32 v1, v37, v1
	s_delay_alu instid0(VALU_DEP_3) | instskip(SKIP_2) | instid1(VALU_DEP_3)
	v_fmac_f32_e32 v27, v22, v46
	v_pk_mul_f32 v[6:7], v[6:7], v[14:15]
	v_pk_add_f32 v[16:17], v[8:9], v[30:31]
	v_fma_f32 v14, -v44, v27, v53
	s_delay_alu instid0(VALU_DEP_3)
	v_div_scale_f32 v29, null, v13, v13, v6
	ds_bpermute_b32 v15, v42, v17
	s_wait_dscnt 0x1
	v_sub_f32_e32 v4, v12, v47
	v_div_fmas_f32 v30, v14, v46, v27
	v_dual_mov_b32 v14, v5 :: v_dual_fma_f32 v9, -v35, v48, v51
	s_mov_b32 vcc_lo, s3
	v_rcp_f32_e32 v35, v29
	v_dual_mul_f32 v31, v4, v21 :: v_dual_mov_b32 v20, v4
	s_delay_alu instid0(VALU_DEP_2) | instskip(SKIP_1) | instid1(VALU_DEP_3)
	v_div_fmas_f32 v9, v9, v39, v48
	v_div_scale_f32 v39, null, v38, v38, v7
	v_div_scale_f32 v40, null, v11, v11, v31
	s_delay_alu instid0(VALU_DEP_3) | instskip(NEXT) | instid1(TRANS32_DEP_1)
	v_div_fixup_f32 v16, v9, v13, v8
	v_fma_f32 v5, -v29, v35, 1.0
	v_div_scale_f32 v46, s2, v7, v38, v7
	s_delay_alu instid0(VALU_DEP_4)
	v_rcp_f32_e32 v41, v40
	v_mov_b32_e32 v27, v11
	s_wait_dscnt 0x0
	v_pk_add_f32 v[8:9], v[16:17], v[14:15]
	v_rcp_f32_e32 v14, v39
	v_div_scale_f32 v16, vcc_lo, v6, v13, v6
	s_delay_alu instid0(VALU_DEP_2) | instskip(SKIP_2) | instid1(TRANS32_DEP_1)
	v_dual_fmac_f32 v35, v5, v35 :: v_dual_mov_b32 v5, v8
	v_fma_f32 v37, -v40, v41, 1.0
	v_div_fixup_f32 v30, v30, v19, v18
	v_fma_f32 v12, -v39, v14, 1.0
	s_delay_alu instid0(VALU_DEP_4) | instskip(SKIP_3) | instid1(VALU_DEP_4)
	v_mul_f32_e32 v44, v16, v35
	v_pk_mul_f32 v[24:25], v[4:5], v[20:21]
	v_fmac_f32_e32 v41, v37, v41
	v_div_scale_f32 v52, s3, v31, v11, v31
	v_dual_fmac_f32 v14, v12, v14 :: v_dual_fma_f32 v12, -v29, v44, v16
	s_delay_alu instid0(VALU_DEP_4) | instskip(NEXT) | instid1(VALU_DEP_2)
	v_dual_mul_f32 v22, v4, v24 :: v_dual_add_f32 v1, v1, v30
	v_dual_mul_f32 v48, v46, v14 :: v_dual_fmac_f32 v44, v12, v35
	s_delay_alu instid0(VALU_DEP_2) | instskip(SKIP_2) | instid1(VALU_DEP_1)
	v_mul_f32_e32 v51, v13, v22
	ds_bpermute_b32 v12, v42, v8
	v_dual_mul_f32 v22, v4, v22 :: v_dual_fma_f32 v16, -v29, v44, v16
	v_dual_mul_f32 v37, v51, v21 :: v_dual_mul_f32 v22, v13, v22
	v_fma_f32 v51, -v39, v48, v46
	s_delay_alu instid0(VALU_DEP_3) | instskip(NEXT) | instid1(VALU_DEP_3)
	v_div_fmas_f32 v16, v16, v35, v44
	v_mul_f32_e32 v37, v54, v37
	v_mul_f32_e32 v44, v52, v41
	v_pk_mul_f32 v[18:19], v[22:23], v[26:27]
	v_fmac_f32_e32 v48, v51, v14
	s_mov_b32 vcc_lo, s2
	v_div_fixup_f32 v6, v16, v13, v6
	v_mov_b32_e32 v16, v21
	v_div_scale_f32 v51, null, v19, v19, v37
	s_wait_dscnt 0x0
	v_dual_mul_f32 v23, v13, v12 :: v_dual_mov_b32 v22, v13
	v_fma_f32 v29, -v39, v48, v46
	s_delay_alu instid0(VALU_DEP_3) | instskip(NEXT) | instid1(VALU_DEP_2)
	v_rcp_f32_e32 v39, v51
	v_pk_fma_f32 v[22:23], v[4:5], v[20:21], v[22:23] neg_lo:[1,0,0] neg_hi:[1,0,0]
	s_delay_alu instid0(VALU_DEP_2) | instskip(SKIP_2) | instid1(TRANS32_DEP_1)
	v_div_fmas_f32 v5, v29, v14, v48
	v_pk_mul_f32 v[28:29], v[28:29], v[24:25]
	v_fma_f32 v35, -v40, v44, v52
	v_fma_f32 v14, -v51, v39, 1.0
	v_mov_b32_e32 v29, v23
	v_mul_f32_e32 v27, 0x40400000, v4
	v_div_scale_f32 v20, s2, v37, v19, v37
	s_delay_alu instid0(VALU_DEP_4) | instskip(NEXT) | instid1(VALU_DEP_3)
	v_dual_fmac_f32 v39, v14, v39 :: v_dual_fmac_f32 v44, v35, v41
	v_pk_mul_f32 v[22:23], v[28:29], v[26:27]
	v_div_fixup_f32 v5, v5, v38, v7
	s_delay_alu instid0(VALU_DEP_3) | instskip(SKIP_1) | instid1(VALU_DEP_3)
	v_dual_mov_b32 v35, v38 :: v_dual_mul_f32 v25, v20, v39
	s_mov_b32 vcc_lo, s3
	v_div_scale_f32 v13, null, v11, v11, v23
	s_delay_alu instid0(VALU_DEP_3) | instskip(NEXT) | instid1(VALU_DEP_3)
	v_add_f32_e32 v1, v5, v1
	v_fma_f32 v5, -v51, v25, v20
	v_fma_f32 v7, -v40, v44, v52
	s_delay_alu instid0(VALU_DEP_4) | instskip(SKIP_1) | instid1(VALU_DEP_3)
	v_rcp_f32_e32 v26, v13
	v_div_scale_f32 v30, null, v11, v11, v22
	v_dual_fmac_f32 v25, v5, v39 :: v_dual_add_f32 v1, v6, v1
	s_delay_alu instid0(VALU_DEP_3) | instskip(SKIP_1) | instid1(TRANS32_DEP_1)
	v_div_fmas_f32 v27, v7, v41, v44
	v_mov_b32_e32 v6, v17
	v_fma_f32 v5, -v13, v26, 1.0
	s_delay_alu instid0(VALU_DEP_4) | instskip(SKIP_2) | instid1(VALU_DEP_3)
	v_dual_mov_b32 v7, v8 :: v_dual_fma_f32 v29, -v51, v25, v20
	v_mov_b32_e32 v17, v36
	v_rcp_f32_e32 v36, v30
	v_dual_fmac_f32 v26, v5, v26 :: v_dual_mov_b32 v20, v15
	v_dual_mov_b32 v21, v12 :: v_dual_mov_b32 v5, v24
	s_delay_alu instid0(VALU_DEP_3)
	v_pk_mul_f32 v[6:7], v[6:7], v[16:17]
	v_div_scale_f32 v38, s3, v23, v11, v23
	s_mov_b32 vcc_lo, s2
	v_pk_mul_f32 v[2:3], v[4:5], v[2:3]
	v_pk_fma_f32 v[16:17], v[34:35], v[20:21], v[6:7]
	v_mov_b32_e32 v14, v15
	v_fma_f32 v15, -v30, v36, 1.0
	v_pk_mul_f32 v[20:21], v[10:11], v[18:19]
	ds_bpermute_b32 v28, v42, v1
	v_pk_fma_f32 v[4:5], v[34:35], v[14:15], v[6:7] neg_lo:[0,0,1] neg_hi:[0,0,1]
	v_mov_b32_e32 v5, v17
	v_div_scale_f32 v7, null, v21, v21, v20
	v_dual_mul_f32 v6, v38, v26 :: v_dual_fmac_f32 v36, v15, v36
	s_delay_alu instid0(VALU_DEP_3) | instskip(NEXT) | instid1(VALU_DEP_3)
	v_pk_mul_f32 v[2:3], v[2:3], v[4:5]
	v_rcp_f32_e32 v5, v7
	v_div_scale_f32 v4, s4, v22, v11, v22
	v_div_fmas_f32 v14, v29, v39, v25
	s_delay_alu instid0(VALU_DEP_3) | instskip(SKIP_1) | instid1(TRANS32_DEP_1)
	v_div_scale_f32 v10, null, v11, v11, v2
	v_div_scale_f32 v24, null, v19, v19, v3
	v_fma_f32 v16, -v7, v5, 1.0
	s_delay_alu instid0(VALU_DEP_3) | instskip(SKIP_1) | instid1(VALU_DEP_3)
	v_rcp_f32_e32 v17, v10
	v_dual_fma_f32 v15, -v13, v6, v38 :: v_dual_mul_f32 v18, v4, v36
	v_rcp_f32_e32 v29, v24
	s_delay_alu instid0(VALU_DEP_2) | instskip(SKIP_1) | instid1(TRANS32_DEP_2)
	v_fmac_f32_e32 v5, v16, v5
	v_div_scale_f32 v16, s2, v20, v21, v20
	v_fma_f32 v25, -v10, v17, 1.0
	v_fmac_f32_e32 v6, v15, v26
	s_delay_alu instid0(VALU_DEP_3) | instskip(NEXT) | instid1(TRANS32_DEP_1)
	v_dual_fma_f32 v15, -v30, v18, v4 :: v_dual_mul_f32 v34, v16, v5
	v_fma_f32 v35, -v24, v29, 1.0
	s_delay_alu instid0(VALU_DEP_4) | instskip(SKIP_1) | instid1(VALU_DEP_3)
	v_fmac_f32_e32 v17, v25, v17
	v_div_scale_f32 v25, s5, v2, v11, v2
	v_dual_fma_f32 v13, -v13, v6, v38 :: v_dual_fmac_f32 v29, v35, v29
	v_fmac_f32_e32 v18, v15, v36
	s_delay_alu instid0(VALU_DEP_3)
	v_dual_fma_f32 v15, -v7, v34, v16 :: v_dual_mul_f32 v38, v25, v17
	v_div_scale_f32 v35, s6, v3, v19, v3
	s_mov_b32 vcc_lo, s3
	v_dual_fma_f32 v4, -v30, v18, v4 :: v_dual_fmac_f32 v34, v15, v5
	v_div_fmas_f32 v6, v13, v26, v6
	v_dual_fma_f32 v13, -v10, v38, v25 :: v_dual_mul_f32 v15, v35, v29
	s_mov_b32 vcc_lo, s4
	s_wait_dscnt 0x0
	v_add_f32_e32 v1, v1, v28
	v_div_fmas_f32 v18, v4, v36, v18
	v_dual_fma_f32 v4, -v7, v34, v16 :: v_dual_fma_f32 v7, -v24, v15, v35
	s_mov_b32 vcc_lo, s2
	s_delay_alu instid0(VALU_DEP_1) | instskip(NEXT) | instid1(VALU_DEP_2)
	v_div_fmas_f32 v4, v4, v5, v34
	v_fmac_f32_e32 v15, v7, v29
	v_fmac_f32_e32 v38, v13, v17
	s_mov_b32 vcc_lo, s5
	v_div_fixup_f32 v13, v14, v19, v37
	v_div_fixup_f32 v4, v4, v21, v20
	s_delay_alu instid0(VALU_DEP_3) | instskip(SKIP_1) | instid1(VALU_DEP_3)
	v_dual_fma_f32 v7, -v24, v15, v35 :: v_dual_fma_f32 v5, -v10, v38, v25
	v_div_fixup_f32 v14, v27, v11, v31
	v_dual_mov_b32 v31, v11 :: v_dual_add_f32 v1, v1, v4
	s_delay_alu instid0(VALU_DEP_3)
	v_div_fmas_f32 v10, v5, v17, v38
	s_mov_b32 vcc_lo, s6
	v_div_fmas_f32 v5, v7, v29, v15
	v_cmp_lt_f32_e32 vcc_lo, v43, v50
	v_div_fixup_f32 v7, v6, v11, v23
	v_div_fixup_f32 v6, v18, v11, v22
	;; [unrolled: 1-line block ×4, first 2 shown]
	v_cndmask_b32_e32 v29, v43, v50, vcc_lo
	v_pk_add_f32 v[4:5], v[8:9], v[12:13]
	v_cmp_lt_f32_e32 vcc_lo, v49, v45
	s_delay_alu instid0(VALU_DEP_4) | instskip(SKIP_1) | instid1(VALU_DEP_4)
	v_add_f32_e32 v1, v3, v1
	v_add_f32_e32 v30, v47, v14
	v_pk_add_f32 v[14:15], v[6:7], v[4:5]
	v_cndmask_b32_e32 v28, v45, v49, vcc_lo
	s_delay_alu instid0(VALU_DEP_4)
	v_add_f32_e32 v34, v2, v1
.LBB9_8:
	s_or_b32 exec_lo, exec_lo, s8
	s_branch .LBB9_53
.LBB9_9:
	s_mov_b32 s23, 0
                                        ; implicit-def: $vgpr9
                                        ; implicit-def: $vgpr13
                                        ; implicit-def: $vgpr16_vgpr17
                                        ; implicit-def: $sgpr10_sgpr11
	s_cbranch_execnz .LBB9_90
	s_branch .LBB9_98
.LBB9_10:
	s_mov_b32 s26, -1
.LBB9_11:
	s_mov_b32 s23, 0
                                        ; implicit-def: $vgpr9
                                        ; implicit-def: $vgpr13
                                        ; implicit-def: $vgpr16_vgpr17
                                        ; implicit-def: $sgpr10_sgpr11
	s_and_b32 vcc_lo, exec_lo, s26
	s_cbranch_vccz .LBB9_58
.LBB9_12:
	s_cmp_eq_u32 s9, 2
	s_cbranch_scc0 .LBB9_19
; %bb.13:
	s_bfe_u32 s2, ttmp6, 0x4000c
	s_and_b32 s3, ttmp6, 15
	s_add_co_i32 s2, s2, 1
	s_getreg_b32 s4, hwreg(HW_REG_IB_STS2, 6, 4)
	s_mul_i32 s2, ttmp9, s2
	s_mov_b32 s11, 0
	s_add_co_i32 s3, s3, s2
	s_cmp_eq_u32 s4, 0
	s_mov_b32 s25, s11
	s_cselect_b32 s10, ttmp9, s3
	s_delay_alu instid0(SALU_CYCLE_1) | instskip(NEXT) | instid1(SALU_CYCLE_1)
	s_lshl_b32 s24, s10, 9
	s_mul_u64 s[2:3], s[24:25], 28
	s_delay_alu instid0(SALU_CYCLE_1) | instskip(NEXT) | instid1(SALU_CYCLE_1)
	s_add_nc_u64 s[2:3], s[16:17], s[2:3]
	v_mad_nc_u64_u32 v[18:19], v0, 28, s[2:3]
	s_lshr_b64 s[2:3], s[18:19], 9
	s_delay_alu instid0(SALU_CYCLE_1)
	s_cmp_lg_u64 s[2:3], s[10:11]
	s_cbranch_scc0 .LBB9_59
; %bb.14:
	s_wait_dscnt 0x0
	s_clause 0x3
	global_load_b128 v[6:9], v[18:19], off offset:7168
	global_load_b128 v[2:5], v[18:19], off
	global_load_b96 v[10:12], v[18:19], off offset:16
	global_load_b96 v[14:16], v[18:19], off offset:7184
	v_mov_b32_e32 v20, 0x40400000
	v_mov_b64_e32 v[22:23], 0x40c0000040800000
	s_wait_loadcnt 0x3
	v_mul_f32_e32 v1, v6, v6
	s_wait_loadcnt 0x2
	v_cmp_lt_f32_e32 vcc_lo, v7, v3
	s_wait_loadcnt 0x1
	v_dual_sub_f32 v24, v9, v5 :: v_dual_mul_f32 v26, v10, v6
	v_dual_mov_b32 v21, v6 :: v_dual_mov_b32 v9, v2
	v_cndmask_b32_e32 v3, v3, v7, vcc_lo
	v_cmp_lt_f32_e32 vcc_lo, v4, v8
	v_mul_f32_e32 v7, v2, v2
	v_dual_mov_b32 v27, v6 :: v_dual_mul_f32 v13, v24, v24
	s_delay_alu instid0(VALU_DEP_4)
	v_mov_b32_dpp v25, v3 quad_perm:[1,0,3,2] row_mask:0xf bank_mask:0xf
	s_wait_loadcnt 0x0
	v_dual_cndmask_b32 v4, v4, v8, vcc_lo :: v_dual_add_f32 v28, v11, v15
	v_dual_mul_f32 v8, v2, v14 :: v_dual_add_f32 v29, v12, v16
	v_dual_mul_f32 v12, v11, v6 :: v_dual_mov_b32 v11, v2
	v_mul_f32_e32 v16, v6, v24
	v_dual_fma_f32 v30, -v2, v6, v7 :: v_dual_mul_f32 v17, 4.0, v24
	v_mul_f32_e32 v7, v7, v14
	v_mov_b32_dpp v31, v4 quad_perm:[1,0,3,2] row_mask:0xf bank_mask:0xf
	v_cmp_lt_f32_e32 vcc_lo, v3, v25
	v_fma_f32 v12, v2, v15, -v12
	v_dual_mov_b32 v15, v6 :: v_dual_fmac_f32 v30, v6, v6
	v_dual_fmac_f32 v7, v10, v1 :: v_dual_cndmask_b32 v1, v25, v3, vcc_lo
	v_cmp_gt_f32_e32 vcc_lo, v4, v31
	v_pk_add_f32 v[8:9], v[8:9], v[26:27] neg_lo:[0,1] neg_hi:[0,1]
	v_dual_mul_f32 v26, v24, v13 :: v_dual_mul_f32 v27, v2, v13
	v_dual_mul_f32 v32, v17, v12 :: v_dual_mul_f32 v13, 0x40c00000, v13
	v_cndmask_b32_e32 v4, v31, v4, vcc_lo
	v_pk_add_f32 v[10:11], v[10:11], v[14:15]
	v_mov_b32_dpp v15, v1 quad_perm:[2,3,0,1] row_mask:0xf bank_mask:0xf
	v_dual_mul_f32 v14, v24, v26 :: v_dual_mul_f32 v27, v6, v27
	s_delay_alu instid0(VALU_DEP_4) | instskip(SKIP_1) | instid1(VALU_DEP_4)
	v_mov_b32_dpp v17, v4 quad_perm:[2,3,0,1] row_mask:0xf bank_mask:0xf
	v_dual_mul_f32 v25, v2, v26 :: v_dual_mul_f32 v26, v13, v7
	v_cmp_lt_f32_e64 s3, v1, v15
	v_pk_mul_f32 v[12:13], v[10:11], v[10:11]
	v_div_scale_f32 v12, null, v11, v11, v16
	v_mov_b32_dpp v3, v11 quad_perm:[1,0,3,2] row_mask:0xf bank_mask:0xf
	v_dual_mov_b32 v7, v11 :: v_dual_mul_f32 v2, v2, v14
	v_cndmask_b32_e64 v1, v15, v1, s3
	v_cmp_gt_f32_e64 s3, v4, v17
	v_div_scale_f32 v33, null, v11, v11, v32
	v_rcp_f32_e32 v36, v12
	s_delay_alu instid0(VALU_DEP_2)
	v_dual_mul_f32 v40, v3, v3 :: v_dual_cndmask_b32 v4, v17, v4, s3
	v_dual_mov_b32 v17, v3 :: v_dual_mul_f32 v2, v6, v2
	v_mov_b32_dpp v6, v1 row_ror:4 row_mask:0xf bank_mask:0xf
	v_div_scale_f32 v37, null, v11, v11, v27
	v_pk_mul_f32 v[14:15], v[20:21], v[24:25]
	v_div_scale_f32 v24, null, v13, v13, v26
	v_rcp_f32_e32 v39, v33
	v_fma_f32 v43, -v12, v36, 1.0
	v_cmp_lt_f32_e64 s5, v1, v6
	v_rcp_f32_e32 v42, v37
	v_pk_mul_f32 v[8:9], v[14:15], v[8:9]
	v_rcp_f32_e32 v14, v24
	v_div_scale_f32 v31, vcc_lo, v16, v11, v16
	v_mov_b32_dpp v41, v4 row_ror:4 row_mask:0xf bank_mask:0xf
	v_fma_f32 v15, -v11, v3, v40
	v_fma_f32 v44, -v33, v39, 1.0
	v_dual_cndmask_b32 v1, v6, v1, s5 :: v_dual_fmac_f32 v36, v43, v36
	v_div_scale_f32 v34, s2, v32, v11, v32
	v_cmp_gt_f32_e64 s5, v4, v41
	v_add_f32_e32 v46, v13, v15
	v_fma_f32 v15, -v37, v42, 1.0
	v_fma_f32 v43, -v24, v14, 1.0
	v_fmac_f32_e32 v39, v44, v39
	v_mov_b32_dpp v44, v1 row_ror:8 row_mask:0xf bank_mask:0xf
	v_dual_mul_f32 v50, v31, v36 :: v_dual_mul_f32 v30, v30, v2
	s_delay_alu instid0(VALU_DEP_4) | instskip(NEXT) | instid1(VALU_DEP_4)
	v_dual_cndmask_b32 v2, v41, v4, s5 :: v_dual_fmac_f32 v14, v43, v14
	v_mul_f32_e32 v43, v34, v39
	s_delay_alu instid0(VALU_DEP_4) | instskip(SKIP_4) | instid1(VALU_DEP_3)
	v_cmp_lt_f32_e64 s8, v1, v44
	v_fmac_f32_e32 v42, v15, v42
	v_fma_f32 v15, -v12, v50, v31
	v_div_scale_f32 v38, s3, v27, v11, v27
	v_mov_b32_dpp v47, v2 row_ror:8 row_mask:0xf bank_mask:0xf
	v_dual_cndmask_b32 v1, v44, v1, s8 :: v_dual_fmac_f32 v50, v15, v36
	s_delay_alu instid0(VALU_DEP_3)
	v_dual_mul_f32 v15, v38, v42 :: v_dual_mul_f32 v35, v11, v13
	v_mov_b32_e32 v21, v11
	v_div_scale_f32 v4, null, v11, v11, v8
	v_div_scale_f32 v41, null, v13, v13, v9
	v_cmp_gt_f32_e64 s8, v2, v47
	v_fma_f32 v12, -v12, v50, v31
	s_delay_alu instid0(VALU_DEP_4) | instskip(NEXT) | instid1(VALU_DEP_3)
	v_rcp_f32_e32 v48, v4
	v_rcp_f32_e32 v49, v41
	v_div_scale_f32 v51, null, v35, v35, v30
	v_div_scale_f32 v25, s4, v26, v13, v26
	v_cndmask_b32_e64 v44, v47, v2, s8
	v_div_fmas_f32 v12, v12, v36, v50
	v_fma_f32 v36, -v33, v43, v34
	v_rcp_f32_e32 v2, v51
	v_fma_f32 v47, -v4, v48, 1.0
	v_fma_f32 v31, -v41, v49, 1.0
	v_div_scale_f32 v6, s5, v8, v11, v8
	v_dual_fmac_f32 v43, v36, v39 :: v_dual_mul_f32 v53, v25, v14
	s_delay_alu instid0(VALU_DEP_4)
	v_fmac_f32_e32 v48, v47, v48
	v_div_scale_f32 v45, s6, v9, v13, v9
	ds_swizzle_b32 v50, v1 offset:swizzle(BROADCAST,32,15)
	v_dual_fma_f32 v47, -v37, v15, v38 :: v_dual_fmac_f32 v49, v31, v49
	v_fma_f32 v31, -v51, v2, 1.0
	v_fma_f32 v36, -v24, v53, v25
	v_div_scale_f32 v52, s7, v30, v35, v30
	s_delay_alu instid0(VALU_DEP_4) | instskip(NEXT) | instid1(VALU_DEP_4)
	v_dual_fmac_f32 v15, v47, v42 :: v_dual_mul_f32 v47, v6, v48
	v_dual_fmac_f32 v2, v31, v2 :: v_dual_mul_f32 v31, v45, v49
	s_delay_alu instid0(VALU_DEP_4) | instskip(NEXT) | instid1(VALU_DEP_3)
	v_dual_fmac_f32 v53, v36, v14 :: v_dual_fma_f32 v33, -v33, v43, v34
	v_fma_f32 v34, -v37, v15, v38
	v_div_fixup_f32 v12, v12, v11, v16
	s_mov_b32 vcc_lo, s3
	s_delay_alu instid0(VALU_DEP_3)
	v_fma_f32 v24, -v24, v53, v25
	v_dual_mul_f32 v25, v52, v2 :: v_dual_fma_f32 v38, -v41, v31, v45
	v_div_fmas_f32 v15, v34, v42, v15
	s_wait_dscnt 0x0
	v_cmp_lt_f32_e32 vcc_lo, v1, v50
	ds_swizzle_b32 v36, v44 offset:swizzle(BROADCAST,32,15)
	v_dual_fma_f32 v16, -v51, v25, v52 :: v_dual_fma_f32 v37, -v4, v47, v6
	v_fmac_f32_e32 v31, v38, v49
	v_div_fixup_f32 v15, v15, v11, v27
	s_delay_alu instid0(VALU_DEP_3) | instskip(NEXT) | instid1(VALU_DEP_4)
	v_dual_cndmask_b32 v1, v50, v1, vcc_lo :: v_dual_fmac_f32 v25, v16, v2
	v_fmac_f32_e32 v47, v37, v48
	s_delay_alu instid0(VALU_DEP_3) | instskip(SKIP_1) | instid1(VALU_DEP_2)
	v_dual_add_f32 v5, v5, v12 :: v_dual_add_f32 v10, v10, v15
	s_mov_b32 vcc_lo, s5
	v_dual_fma_f32 v12, -v51, v25, v52 :: v_dual_fma_f32 v4, -v4, v47, v6
	v_fma_f32 v6, -v41, v31, v45
	s_delay_alu instid0(VALU_DEP_3) | instskip(NEXT) | instid1(VALU_DEP_3)
	v_mov_b32_dpp v27, v5 quad_perm:[1,0,3,2] row_mask:0xf bank_mask:0xf
	v_div_fmas_f32 v4, v4, v48, v47
	s_mov_b32 vcc_lo, s6
	s_delay_alu instid0(VALU_DEP_3) | instskip(SKIP_1) | instid1(VALU_DEP_2)
	v_div_fmas_f32 v6, v6, v49, v31
	s_mov_b32 vcc_lo, s7
	v_div_fixup_f32 v31, v4, v11, v8
	v_div_fmas_f32 v8, v12, v2, v25
	v_mov_b32_dpp v2, v10 quad_perm:[1,0,3,2] row_mask:0xf bank_mask:0xf
	v_sub_f32_e32 v4, v5, v27
	v_div_fixup_f32 v5, v6, v13, v9
	s_mov_b32 vcc_lo, s4
	v_div_fixup_f32 v15, v8, v35, v30
	v_div_fmas_f32 v12, v24, v14, v53
	v_pk_add_f32 v[8:9], v[10:11], v[2:3]
	v_dual_mul_f32 v16, v10, v3 :: v_dual_mul_f32 v6, v11, v2
	v_dual_add_f32 v5, v28, v5 :: v_dual_mul_f32 v24, v13, v2
	v_dual_mul_f32 v2, v4, v4 :: v_dual_mul_f32 v30, v11, v4
	s_mov_b32 vcc_lo, s2
	v_div_fixup_f32 v25, v12, v13, v26
	v_pk_mul_f32 v[12:13], v[8:9], v[8:9]
	v_div_fmas_f32 v14, v33, v39, v43
	v_dual_mul_f32 v33, 4.0, v4 :: v_dual_add_f32 v26, v29, v15
	v_dual_fmac_f32 v24, v10, v40 :: v_dual_mul_f32 v10, v4, v2
	v_mul_f32_e32 v12, v2, v3
	v_pk_add_f32 v[6:7], v[16:17], v[6:7] neg_lo:[0,1] neg_hi:[0,1]
	v_dual_mul_f32 v2, 0x40c00000, v2 :: v_dual_mov_b32 v17, v9
	v_div_scale_f32 v16, null, v9, v9, v30
	v_mov_b32_dpp v15, v9 quad_perm:[2,3,0,1] row_mask:0xf bank_mask:0xf
	v_dual_add_f32 v29, v31, v5 :: v_dual_add_f32 v26, v25, v26
	v_div_fixup_f32 v14, v14, v11, v32
	v_dual_mul_f32 v31, v9, v13 :: v_dual_mul_f32 v32, v4, v10
	v_dual_mul_f32 v12, v11, v12 :: v_dual_mul_f32 v5, v10, v3
	v_dual_mul_f32 v10, v2, v24 :: v_dual_mul_f32 v34, v15, v15
	v_rcp_f32_e32 v2, v16
	v_mov_b32_dpp v24, v29 quad_perm:[1,0,3,2] row_mask:0xf bank_mask:0xf
	v_dual_mov_b32 v25, v15 :: v_dual_add_f32 v14, v14, v26
	v_pk_mul_f32 v[4:5], v[4:5], v[20:21]
	v_dual_mul_f32 v26, v32, v3 :: v_dual_mov_b32 v21, v9
	v_div_scale_f32 v32, null, v9, v9, v12
	v_fma_f32 v39, -v9, v15, v34
	v_dual_add_f32 v40, v29, v24 :: v_dual_mul_f32 v24, v11, v24
	v_fma_f32 v41, -v16, v2, 1.0
	v_div_scale_f32 v37, null, v13, v13, v10
	v_pk_mul_f32 v[4:5], v[4:5], v[6:7]
	v_rcp_f32_e32 v7, v32
	v_div_scale_f32 v28, vcc_lo, v30, v9, v30
	v_mov_b32_dpp v42, v14 quad_perm:[1,0,3,2] row_mask:0xf bank_mask:0xf
	v_dual_mul_f32 v6, v11, v26 :: v_dual_fma_f32 v3, v29, v3, -v24
	v_fmac_f32_e32 v2, v41, v2
	v_rcp_f32_e32 v11, v37
	s_delay_alu instid0(VALU_DEP_3)
	v_dual_add_f32 v26, v13, v39 :: v_dual_add_f32 v29, v14, v42
	v_div_scale_f32 v39, null, v13, v13, v5
	v_dual_mul_f32 v6, v46, v6 :: v_dual_mul_f32 v3, v33, v3
	v_mul_f32_e32 v33, v28, v2
	v_fma_f32 v42, -v32, v7, 1.0
	v_div_scale_f32 v14, null, v9, v9, v4
	v_rcp_f32_e32 v46, v39
	v_div_scale_f32 v35, s2, v12, v9, v12
	v_fma_f32 v43, -v37, v11, 1.0
	v_dual_fma_f32 v49, -v16, v33, v28 :: v_dual_fmac_f32 v7, v42, v7
	v_rcp_f32_e32 v45, v14
	v_div_scale_f32 v47, null, v31, v31, v6
	v_div_scale_f32 v38, s3, v10, v13, v10
	s_delay_alu instid0(VALU_DEP_3)
	v_dual_fmac_f32 v33, v49, v2 :: v_dual_fmac_f32 v11, v43, v11
	v_fma_f32 v52, -v39, v46, 1.0
	v_mul_f32_e32 v49, v35, v7
	v_div_scale_f32 v42, null, v9, v9, v3
	v_rcp_f32_e32 v50, v47
	v_fma_f32 v51, -v14, v45, 1.0
	v_fma_f32 v16, -v16, v33, v28
	v_dual_fmac_f32 v46, v52, v46 :: v_dual_mul_f32 v53, v38, v11
	v_fma_f32 v28, -v32, v49, v35
	v_rcp_f32_e32 v54, v42
	v_div_scale_f32 v24, s4, v4, v9, v4
	v_div_scale_f32 v41, s5, v5, v13, v5
	v_fmac_f32_e32 v45, v51, v45
	v_fma_f32 v51, -v47, v50, 1.0
	v_dual_fma_f32 v52, -v37, v53, v38 :: v_dual_fmac_f32 v49, v28, v7
	v_div_fmas_f32 v2, v16, v2, v33
	v_fma_f32 v55, -v42, v54, 1.0
	v_dual_mul_f32 v28, v41, v46 :: v_dual_mul_f32 v16, v24, v45
	v_fmac_f32_e32 v50, v51, v50
	v_div_scale_f32 v48, s6, v6, v31, v6
	v_div_fixup_f32 v2, v2, v9, v30
	s_delay_alu instid0(VALU_DEP_4)
	v_dual_fma_f32 v30, -v32, v49, v35 :: v_dual_fma_f32 v32, -v14, v16, v24
	v_div_scale_f32 v43, s7, v3, v9, v3
	v_dual_fmac_f32 v53, v52, v11 :: v_dual_fmac_f32 v54, v55, v54
	s_mov_b32 vcc_lo, s2
	v_dual_fma_f32 v33, -v39, v28, v41 :: v_dual_mul_f32 v35, v48, v50
	v_div_fmas_f32 v7, v30, v7, v49
	s_delay_alu instid0(VALU_DEP_3) | instskip(SKIP_1) | instid1(VALU_DEP_4)
	v_dual_fma_f32 v37, -v37, v53, v38 :: v_dual_mul_f32 v38, v43, v54
	v_dual_add_f32 v2, v2, v27 :: v_dual_fmac_f32 v16, v32, v45
	v_fma_f32 v27, -v47, v35, v48
	s_delay_alu instid0(VALU_DEP_4) | instskip(SKIP_2) | instid1(VALU_DEP_4)
	v_div_fixup_f32 v7, v7, v9, v12
	v_fmac_f32_e32 v28, v33, v46
	v_fma_f32 v30, -v42, v38, v43
	v_dual_fma_f32 v12, -v14, v16, v24 :: v_dual_fmac_f32 v35, v27, v50
	v_mov_b32_dpp v27, v2 quad_perm:[2,3,0,1] row_mask:0xf bank_mask:0xf
	s_delay_alu instid0(VALU_DEP_4) | instskip(NEXT) | instid1(VALU_DEP_4)
	v_dual_add_f32 v8, v8, v7 :: v_dual_fma_f32 v14, -v39, v28, v41
	v_fmac_f32_e32 v38, v30, v54
	s_mov_b32 vcc_lo, s4
	v_div_fmas_f32 v7, v12, v45, v16
	s_mov_b32 vcc_lo, s5
	v_fma_f32 v12, -v47, v35, v48
	v_div_fmas_f32 v16, v14, v46, v28
	v_mov_b32_dpp v14, v8 quad_perm:[2,3,0,1] row_mask:0xf bank_mask:0xf
	v_sub_f32_e32 v2, v2, v27
	s_mov_b32 vcc_lo, s6
	v_fma_f32 v28, -v42, v38, v43
	v_div_fixup_f32 v30, v7, v9, v4
	v_div_fmas_f32 v4, v12, v50, v35
	v_div_fixup_f32 v33, v16, v13, v5
	v_dual_mul_f32 v16, v9, v14 :: v_dual_mul_f32 v24, v8, v15
	v_mul_f32_e32 v7, v2, v2
	s_mov_b32 vcc_lo, s3
	v_dual_mul_f32 v12, v9, v2 :: v_dual_mul_f32 v32, 4.0, v2
	v_div_fmas_f32 v11, v37, v11, v53
	s_mov_b32 vcc_lo, s7
	v_div_fixup_f32 v6, v4, v31, v6
	v_div_fmas_f32 v28, v28, v54, v38
	v_mul_f32_e32 v31, v13, v14
	v_pk_add_f32 v[4:5], v[8:9], v[14:15]
	v_mul_f32_e32 v14, v2, v7
	v_dual_mul_f32 v35, v7, v15 :: v_dual_add_f32 v33, v40, v33
	v_mul_f32_e32 v37, 0x40c00000, v7
	v_div_fixup_f32 v38, v11, v13, v10
	v_div_fixup_f32 v28, v28, v9, v3
	v_dual_add_f32 v29, v29, v6 :: v_dual_fmac_f32 v31, v34, v8
	v_mul_f32_e32 v34, v2, v14
	v_mul_f32_e32 v3, v14, v15
	v_pk_add_f32 v[10:11], v[24:25], v[16:17] neg_lo:[0,1] neg_hi:[0,1]
	v_div_scale_f32 v16, null, v5, v5, v12
	v_dual_mul_f32 v35, v9, v35 :: v_dual_add_f32 v30, v30, v33
	v_pk_mul_f32 v[6:7], v[4:5], v[4:5]
	v_mov_b32_dpp v13, v5 row_ror:4 row_mask:0xf bank_mask:0xf
	v_mov_b32_e32 v6, v5
	v_pk_mul_f32 v[2:3], v[20:21], v[2:3]
	v_mul_f32_e32 v21, v34, v15
	v_rcp_f32_e32 v34, v16
	v_dual_add_f32 v29, v38, v29 :: v_dual_mul_f32 v33, v5, v7
	v_mov_b32_dpp v39, v30 quad_perm:[2,3,0,1] row_mask:0xf bank_mask:0xf
	v_dual_mul_f32 v31, v37, v31 :: v_dual_mov_b32 v14, v7
	v_div_scale_f32 v37, null, v5, v5, v35
	s_delay_alu instid0(VALU_DEP_4) | instskip(NEXT) | instid1(VALU_DEP_4)
	v_dual_mov_b32 v25, v13 :: v_dual_add_f32 v28, v28, v29
	v_add_f32_e32 v40, v30, v39
	v_pk_mul_f32 v[2:3], v[2:3], v[10:11]
	v_dual_mul_f32 v10, v9, v21 :: v_dual_mul_f32 v9, v9, v39
	v_fma_f32 v39, -v16, v34, 1.0
	v_rcp_f32_e32 v11, v37
	v_div_scale_f32 v21, null, v7, v7, v31
	v_div_scale_f32 v24, vcc_lo, v12, v5, v12
	s_delay_alu instid0(VALU_DEP_3)
	v_dual_fma_f32 v9, v30, v15, -v9 :: v_dual_fmac_f32 v34, v39, v34
	v_div_scale_f32 v43, null, v7, v7, v3
	v_mov_b32_dpp v41, v28 quad_perm:[2,3,0,1] row_mask:0xf bank_mask:0xf
	v_mul_f32_e32 v10, v26, v10
	v_div_scale_f32 v26, null, v5, v5, v2
	v_rcp_f32_e32 v46, v21
	v_fma_f32 v15, -v37, v11, 1.0
	v_mul_f32_e32 v48, v24, v34
	v_rcp_f32_e32 v39, v43
	v_add_f32_e32 v28, v28, v41
	v_rcp_f32_e32 v30, v26
	v_div_scale_f32 v41, null, v33, v33, v10
	v_div_scale_f32 v38, s2, v35, v5, v35
	v_dual_fmac_f32 v11, v15, v11 :: v_dual_mul_f32 v32, v32, v9
	v_fma_f32 v9, -v21, v46, 1.0
	v_fma_f32 v49, -v16, v48, v24
	v_rcp_f32_e32 v15, v41
	s_delay_alu instid0(VALU_DEP_3) | instskip(SKIP_4) | instid1(VALU_DEP_4)
	v_mul_f32_e32 v50, v38, v11
	v_fma_f32 v52, -v43, v39, 1.0
	v_div_scale_f32 v53, null, v5, v5, v32
	v_fma_f32 v51, -v26, v30, 1.0
	v_fmac_f32_e32 v46, v9, v46
	v_dual_fmac_f32 v48, v49, v34 :: v_dual_fmac_f32 v39, v52, v39
	s_delay_alu instid0(VALU_DEP_4) | instskip(SKIP_2) | instid1(VALU_DEP_3)
	v_rcp_f32_e32 v52, v53
	v_div_scale_f32 v29, s3, v31, v7, v31
	v_div_scale_f32 v42, s4, v2, v5, v2
	v_dual_fma_f32 v9, -v37, v50, v38 :: v_dual_fma_f32 v16, -v16, v48, v24
	v_fma_f32 v49, -v41, v15, 1.0
	v_fmac_f32_e32 v30, v51, v30
	v_div_scale_f32 v45, s5, v3, v7, v3
	v_div_scale_f32 v47, s6, v10, v33, v10
	s_delay_alu instid0(VALU_DEP_4) | instskip(NEXT) | instid1(VALU_DEP_4)
	v_fmac_f32_e32 v15, v49, v15
	v_dual_fmac_f32 v50, v9, v11 :: v_dual_mul_f32 v24, v42, v30
	v_mul_f32_e32 v51, v29, v46
	v_div_fmas_f32 v9, v16, v34, v48
	v_fma_f32 v34, -v53, v52, 1.0
	s_mov_b32 vcc_lo, s2
	v_dual_mov_b32 v17, v5 :: v_dual_mov_b32 v8, v5
	s_delay_alu instid0(VALU_DEP_2) | instskip(SKIP_2) | instid1(VALU_DEP_3)
	v_dual_fma_f32 v16, -v21, v51, v29 :: v_dual_fmac_f32 v52, v34, v52
	v_mul_f32_e32 v49, v45, v39
	v_div_fixup_f32 v9, v9, v5, v12
	v_fmac_f32_e32 v51, v16, v46
	s_delay_alu instid0(VALU_DEP_3) | instskip(SKIP_2) | instid1(VALU_DEP_3)
	v_dual_fma_f32 v37, -v37, v50, v38 :: v_dual_fma_f32 v34, -v43, v49, v45
	v_dual_fma_f32 v16, -v26, v24, v42 :: v_dual_mul_f32 v12, v47, v15
	v_div_scale_f32 v38, s7, v32, v5, v32
	v_div_fmas_f32 v11, v37, v11, v50
	s_delay_alu instid0(VALU_DEP_3) | instskip(NEXT) | instid1(VALU_DEP_4)
	v_dual_fmac_f32 v24, v16, v30 :: v_dual_fmac_f32 v49, v34, v39
	v_fma_f32 v16, -v41, v12, v47
	v_add_f32_e32 v27, v9, v27
	s_delay_alu instid0(VALU_DEP_4) | instskip(NEXT) | instid1(VALU_DEP_4)
	v_div_fixup_f32 v9, v11, v5, v35
	v_dual_fma_f32 v11, -v26, v24, v42 :: v_dual_fma_f32 v26, -v43, v49, v45
	s_delay_alu instid0(VALU_DEP_4)
	v_fmac_f32_e32 v12, v16, v15
	v_dual_fma_f32 v21, -v21, v51, v29 :: v_dual_mul_f32 v29, v38, v52
	s_mov_b32 vcc_lo, s4
	v_add_f32_e32 v9, v4, v9
	v_div_fmas_f32 v4, v11, v30, v24
	s_mov_b32 vcc_lo, s5
	v_fma_f32 v11, -v41, v12, v47
	v_mov_b32_dpp v34, v27 row_ror:4 row_mask:0xf bank_mask:0xf
	v_fma_f32 v16, -v53, v29, v38
	v_div_fmas_f32 v26, v26, v39, v49
	s_mov_b32 vcc_lo, s6
	v_div_fixup_f32 v30, v4, v5, v2
	v_div_fmas_f32 v2, v11, v15, v12
	v_mov_b32_dpp v12, v9 row_ror:4 row_mask:0xf bank_mask:0xf
	v_dual_sub_f32 v4, v27, v34 :: v_dual_fmac_f32 v29, v16, v52
	v_mul_f32_e32 v24, v9, v13
	v_div_fixup_f32 v15, v26, v7, v3
	s_mov_b32 vcc_lo, s3
	v_div_fixup_f32 v27, v2, v33, v10
	v_pk_mul_f32 v[10:11], v[12:13], v[12:13]
	v_div_fmas_f32 v21, v21, v46, v51
	v_dual_fma_f32 v26, -v53, v29, v38 :: v_dual_mul_f32 v3, v4, v4
	v_dual_mul_f32 v16, v5, v12 :: v_dual_add_f32 v10, v40, v15
	s_mov_b32 vcc_lo, s7
	s_delay_alu instid0(VALU_DEP_3) | instskip(NEXT) | instid1(VALU_DEP_3)
	v_div_fixup_f32 v21, v21, v7, v31
	v_div_fmas_f32 v26, v26, v52, v29
	v_dual_add_f32 v27, v28, v27 :: v_dual_mul_f32 v29, v3, v13
	v_mul_f32_e32 v28, v4, v3
	v_pk_add_f32 v[16:17], v[24:25], v[16:17] neg_lo:[0,1] neg_hi:[0,1]
	v_dual_fma_f32 v24, -v5, v13, v11 :: v_dual_add_f32 v15, v30, v10
	s_delay_alu instid0(VALU_DEP_4) | instskip(SKIP_2) | instid1(VALU_DEP_4)
	v_add_f32_e32 v27, v21, v27
	v_div_fixup_f32 v26, v26, v5, v32
	v_dual_mul_f32 v30, v4, v28 :: v_dual_mul_f32 v31, v5, v29
	v_dual_mul_f32 v21, v28, v13 :: v_dual_add_f32 v28, v7, v24
	v_mov_b32_dpp v10, v15 row_ror:4 row_mask:0xf bank_mask:0xf
	v_pk_mul_f32 v[24:25], v[14:15], v[12:13]
	v_dual_mul_f32 v33, v5, v4 :: v_dual_mov_b32 v2, v4
	v_add_f32_e32 v14, v26, v27
	v_pk_mul_f32 v[26:27], v[4:5], v[20:21]
	v_dual_mul_f32 v21, v30, v13 :: v_dual_add_f32 v35, v15, v10
	v_mov_b32_e32 v4, v9
	v_pk_fma_f32 v[8:9], v[8:9], v[10:11], v[24:25] op_sel:[0,0,1] op_sel_hi:[1,1,0]
	v_pk_fma_f32 v[6:7], v[6:7], v[10:11], v[24:25] op_sel:[0,0,1] op_sel_hi:[1,1,0] neg_lo:[1,0,0] neg_hi:[1,0,0]
	v_pk_mul_f32 v[2:3], v[2:3], v[22:23]
	v_pk_mul_f32 v[10:11], v[26:27], v[16:17]
	s_delay_alu instid0(VALU_DEP_4) | instskip(SKIP_2) | instid1(VALU_DEP_3)
	v_mov_b32_dpp v8, v14 row_ror:4 row_mask:0xf bank_mask:0xf
	v_mul_f32_e32 v15, v5, v21
	v_pk_add_f32 v[4:5], v[4:5], v[12:13]
	v_dual_add_f32 v21, v14, v8 :: v_dual_mov_b32 v7, v9
	s_delay_alu instid0(VALU_DEP_3) | instskip(NEXT) | instid1(VALU_DEP_3)
	v_mul_f32_e32 v27, v28, v15
	v_div_scale_f32 v9, null, v5, v5, v33
	v_div_scale_f32 v14, null, v5, v5, v31
	;; [unrolled: 1-line block ×3, first 2 shown]
	v_pk_mul_f32 v[2:3], v[2:3], v[6:7]
	s_delay_alu instid0(VALU_DEP_4) | instskip(NEXT) | instid1(VALU_DEP_3)
	v_rcp_f32_e32 v6, v9
	v_rcp_f32_e32 v37, v14
	s_delay_alu instid0(VALU_DEP_2) | instskip(SKIP_3) | instid1(TRANS32_DEP_3)
	v_rcp_f32_e32 v38, v30
	v_mov_b32_dpp v12, v5 row_ror:8 row_mask:0xf bank_mask:0xf
	v_div_scale_f32 v39, null, v5, v5, v2
	v_div_scale_f32 v13, vcc_lo, v33, v5, v33
	v_fma_f32 v41, -v9, v6, 1.0
	s_delay_alu instid0(VALU_DEP_3)
	v_rcp_f32_e32 v45, v39
	v_dual_mov_b32 v16, v5 :: v_dual_mov_b32 v24, v5
	v_mov_b32_e32 v17, v12
	v_fma_f32 v42, -v14, v37, 1.0
	v_fma_f32 v43, -v30, v38, 1.0
	v_fmac_f32_e32 v6, v41, v6
	v_div_scale_f32 v25, s2, v31, v5, v31
	v_pk_mul_f32 v[28:29], v[16:17], v[16:17]
	s_delay_alu instid0(VALU_DEP_4) | instskip(SKIP_2) | instid1(VALU_DEP_4)
	v_dual_fmac_f32 v37, v42, v37 :: v_dual_fmac_f32 v38, v43, v38
	v_fma_f32 v43, -v39, v45, 1.0
	v_mul_f32_e32 v48, v13, v6
	v_div_scale_f32 v41, null, v28, v28, v11
	v_div_scale_f32 v32, s3, v10, v5, v10
	s_delay_alu instid0(VALU_DEP_4) | instskip(NEXT) | instid1(VALU_DEP_4)
	v_fmac_f32_e32 v45, v43, v45
	v_fma_f32 v42, -v9, v48, v13
	v_mul_f32_e32 v46, v5, v28
	v_div_scale_f32 v49, null, v28, v28, v3
	v_rcp_f32_e32 v50, v41
	s_delay_alu instid0(VALU_DEP_3) | instskip(NEXT) | instid1(VALU_DEP_3)
	v_dual_fmac_f32 v48, v42, v6 :: v_dual_mul_f32 v42, v25, v37
	v_div_scale_f32 v51, null, v46, v46, v27
	s_delay_alu instid0(VALU_DEP_3) | instskip(NEXT) | instid1(VALU_DEP_2)
	v_rcp_f32_e32 v52, v49
	v_dual_mul_f32 v53, v32, v38 :: v_dual_fma_f32 v9, -v9, v48, v13
	v_div_scale_f32 v40, s4, v2, v5, v2
	v_fma_f32 v13, -v14, v42, v25
	v_fma_f32 v43, -v41, v50, 1.0
	s_delay_alu instid0(VALU_DEP_4)
	v_div_fmas_f32 v6, v9, v6, v48
	v_rcp_f32_e32 v48, v51
	v_fma_f32 v9, -v30, v53, v32
	v_div_scale_f32 v54, s6, v3, v28, v3
	v_dual_fmac_f32 v50, v43, v50 :: v_dual_mul_f32 v43, v40, v45
	v_fmac_f32_e32 v42, v13, v37
	v_fma_f32 v13, -v49, v52, 1.0
	v_fmac_f32_e32 v53, v9, v38
	v_fma_f32 v9, -v51, v48, 1.0
	v_div_scale_f32 v47, s5, v11, v28, v11
	s_delay_alu instid0(VALU_DEP_4) | instskip(NEXT) | instid1(VALU_DEP_3)
	v_dual_fmac_f32 v52, v13, v52 :: v_dual_fma_f32 v13, -v14, v42, v25
	v_fmac_f32_e32 v48, v9, v48
	v_fma_f32 v14, -v39, v43, v40
	v_div_scale_f32 v55, s7, v27, v46, v27
	s_mov_b32 vcc_lo, s2
	v_dual_fma_f32 v32, -v30, v53, v32 :: v_dual_mul_f32 v56, v47, v50
	v_fmac_f32_e32 v43, v14, v45
	v_mul_f32_e32 v57, v54, v52
	v_div_fmas_f32 v9, v13, v37, v42
	v_div_fixup_f32 v6, v6, v5, v33
	s_delay_alu instid0(VALU_DEP_4) | instskip(NEXT) | instid1(VALU_DEP_4)
	v_dual_fma_f32 v13, -v41, v56, v47 :: v_dual_fma_f32 v37, -v39, v43, v40
	v_dual_mul_f32 v39, v55, v48 :: v_dual_fma_f32 v14, -v49, v57, v54
	v_mov_b32_e32 v30, v29
	s_mov_b32 vcc_lo, s5
	v_dual_mov_b32 v8, v5 :: v_dual_mov_b32 v15, v5
	s_delay_alu instid0(VALU_DEP_3) | instskip(SKIP_3) | instid1(VALU_DEP_3)
	v_fmac_f32_e32 v57, v14, v52
	v_div_fixup_f32 v14, v9, v5, v31
	v_add_f32_e32 v31, v6, v34
	v_dual_fmac_f32 v56, v13, v50 :: v_dual_mov_b32 v9, v28
	v_dual_fma_f32 v13, -v51, v39, v55 :: v_dual_add_f32 v25, v4, v14
	s_delay_alu instid0(VALU_DEP_3) | instskip(NEXT) | instid1(VALU_DEP_3)
	v_mov_b32_dpp v40, v31 row_ror:8 row_mask:0xf bank_mask:0xf
	v_fma_f32 v6, -v41, v56, v47
	v_dual_mov_b32 v26, v5 :: v_dual_mov_b32 v7, v12
	s_delay_alu instid0(VALU_DEP_3) | instskip(SKIP_1) | instid1(VALU_DEP_4)
	v_sub_f32_e32 v14, v31, v40
	v_fmac_f32_e32 v39, v13, v48
	v_div_fmas_f32 v33, v6, v50, v56
	v_mov_b32_dpp v13, v25 row_ror:8 row_mask:0xf bank_mask:0xf
	v_fma_f32 v34, -v49, v57, v54
	s_mov_b32 vcc_lo, s3
	v_fma_f32 v41, -v51, v39, v55
	v_div_fmas_f32 v38, v32, v38, v53
	s_mov_b32 vcc_lo, s7
	v_div_fixup_f32 v42, v33, v28, v11
	v_pk_mul_f32 v[32:33], v[4:5], v[12:13]
	v_div_fmas_f32 v39, v41, v48, v39
	s_mov_b32 vcc_lo, s4
	v_div_fixup_f32 v32, v38, v5, v10
	v_div_fmas_f32 v37, v37, v45, v43
	s_mov_b32 vcc_lo, s6
	v_pk_fma_f32 v[10:11], v[8:9], v[12:13], v[30:31] neg_lo:[1,0,0] neg_hi:[1,0,0]
	v_div_fmas_f32 v8, v34, v52, v57
	v_dual_mov_b32 v4, v33 :: v_dual_mul_f32 v34, v14, v14
	v_dual_mul_f32 v6, v25, v12 :: v_dual_add_f32 v35, v35, v42
	v_pk_add_f32 v[30:31], v[24:25], v[12:13]
	v_div_fixup_f32 v39, v39, v46, v27
	v_mul_f32_e32 v38, v5, v14
	v_pk_fma_f32 v[10:11], v[16:17], v[16:17], v[10:11]
	v_mul_f32_e32 v16, v14, v34
	v_mov_b32_e32 v17, v30
	v_div_fixup_f32 v11, v8, v28, v3
	v_add_f32_e32 v8, v32, v35
	v_add_f32_e32 v32, v21, v39
	v_div_fixup_f32 v33, v37, v5, v2
	v_mov_b32_e32 v27, v30
	v_dual_mul_f32 v28, v34, v12 :: v_dual_mul_f32 v21, v16, v12
	v_div_scale_f32 v35, null, v30, v30, v38
	v_pk_add_f32 v[2:3], v[6:7], v[4:5] neg_lo:[0,1] neg_hi:[0,1]
	v_mul_f32_e32 v6, v14, v16
	v_add_f32_e32 v7, v11, v32
	v_mul_f32_e32 v39, v5, v28
	v_mov_b32_dpp v28, v8 row_ror:8 row_mask:0xf bank_mask:0xf
	v_rcp_f32_e32 v32, v35
	v_pk_mul_f32 v[4:5], v[14:15], v[20:21]
	v_mov_b32_e32 v15, v34
	v_dual_mul_f32 v16, v6, v12 :: v_dual_add_f32 v6, v33, v7
	v_add_f32_e32 v21, v8, v28
	v_div_scale_f32 v33, null, v30, v30, v39
	v_pk_mul_f32 v[2:3], v[4:5], v[2:3]
	s_delay_alu instid0(VALU_DEP_4)
	v_pk_mul_f32 v[4:5], v[26:27], v[16:17]
	v_fma_f32 v7, -v35, v32, 1.0
	v_mov_b32_dpp v11, v6 row_ror:8 row_mask:0xf bank_mask:0xf
	v_rcp_f32_e32 v26, v33
	v_div_scale_f32 v37, vcc_lo, v38, v30, v38
	v_div_scale_f32 v34, null, v5, v5, v3
	s_delay_alu instid0(VALU_DEP_3) | instskip(SKIP_1) | instid1(VALU_DEP_3)
	v_dual_fmac_f32 v32, v7, v32 :: v_dual_add_f32 v27, v6, v11
	v_pk_mul_f32 v[6:7], v[24:25], v[28:29]
	v_rcp_f32_e32 v25, v34
	s_delay_alu instid0(TRANS32_DEP_2)
	v_fma_f32 v11, -v33, v26, 1.0
	v_pk_mul_f32 v[14:15], v[14:15], v[22:23]
	v_div_scale_f32 v41, s3, v3, v5, v3
	v_pk_fma_f32 v[16:17], v[8:9], v[12:13], v[6:7] neg_lo:[0,0,1] neg_hi:[0,0,1]
	v_pk_fma_f32 v[6:7], v[8:9], v[12:13], v[6:7]
	v_dual_mul_f32 v24, v37, v32 :: v_dual_fmac_f32 v26, v11, v26
	v_div_scale_f32 v12, s2, v39, v30, v39
	v_fma_f32 v8, -v34, v25, 1.0
	s_delay_alu instid0(VALU_DEP_4) | instskip(NEXT) | instid1(VALU_DEP_3)
	v_mov_b32_e32 v17, v7
	v_dual_fma_f32 v6, -v35, v24, v37 :: v_dual_mul_f32 v28, v12, v26
	v_div_scale_f32 v13, null, v30, v30, v2
	s_delay_alu instid0(VALU_DEP_2) | instskip(NEXT) | instid1(VALU_DEP_4)
	v_dual_fmac_f32 v25, v8, v25 :: v_dual_fmac_f32 v24, v6, v32
	v_pk_mul_f32 v[6:7], v[14:15], v[16:17]
	s_delay_alu instid0(VALU_DEP_3) | instskip(NEXT) | instid1(VALU_DEP_2)
	v_rcp_f32_e32 v29, v13
	v_dual_mov_b32 v11, v30 :: v_dual_mul_f32 v14, v41, v25
	v_fma_f32 v9, -v33, v28, v12
	v_fma_f32 v8, -v35, v24, v37
	s_delay_alu instid0(TRANS32_DEP_1) | instskip(NEXT) | instid1(VALU_DEP_4)
	v_fma_f32 v15, -v13, v29, 1.0
	v_fma_f32 v17, -v34, v14, v41
	s_delay_alu instid0(VALU_DEP_4) | instskip(NEXT) | instid1(VALU_DEP_4)
	v_fmac_f32_e32 v28, v9, v26
	v_div_fmas_f32 v16, v8, v32, v24
	v_pk_mul_f32 v[8:9], v[10:11], v[4:5]
	v_fmac_f32_e32 v29, v15, v29
	v_div_scale_f32 v15, s4, v2, v30, v2
	v_fma_f32 v10, -v33, v28, v12
	s_mov_b32 vcc_lo, s2
	v_div_fixup_f32 v4, v16, v30, v38
	s_delay_alu instid0(VALU_DEP_3) | instskip(SKIP_2) | instid1(VALU_DEP_4)
	v_mul_f32_e32 v11, v15, v29
	v_div_scale_f32 v12, null, v9, v9, v8
	v_div_fmas_f32 v10, v10, v26, v28
	v_add_f32_e32 v16, v4, v40
	s_mov_b32 vcc_lo, s3
	v_fma_f32 v24, -v13, v11, v15
	v_div_scale_f32 v26, null, v5, v5, v7
	v_div_fixup_f32 v10, v10, v30, v39
	v_fmac_f32_e32 v14, v17, v25
	v_rcp_f32_e32 v17, v12
	v_div_scale_f32 v32, s3, v6, v30, v6
	s_delay_alu instid0(VALU_DEP_3) | instskip(NEXT) | instid1(VALU_DEP_3)
	v_add_f32_e32 v28, v31, v10
	v_fma_f32 v4, -v34, v14, v41
	ds_swizzle_b32 v10, v30 offset:swizzle(BROADCAST,32,15)
	ds_swizzle_b32 v33, v16 offset:swizzle(BROADCAST,32,15)
	v_div_fmas_f32 v4, v4, v25, v14
	v_fma_f32 v14, -v12, v17, 1.0
	s_mov_b32 vcc_lo, s4
	v_div_scale_f32 v37, s4, v7, v5, v7
	s_delay_alu instid0(VALU_DEP_3) | instskip(SKIP_2) | instid1(VALU_DEP_3)
	v_div_fixup_f32 v3, v4, v5, v3
	v_fmac_f32_e32 v11, v24, v29
	v_div_scale_f32 v24, null, v30, v30, v6
	v_dual_fmac_f32 v17, v14, v17 :: v_dual_add_f32 v21, v21, v3
	s_delay_alu instid0(VALU_DEP_3) | instskip(SKIP_1) | instid1(VALU_DEP_4)
	v_fma_f32 v4, -v13, v11, v15
	v_div_scale_f32 v13, s2, v8, v9, v8
	v_rcp_f32_e32 v25, v24
	v_mov_b32_e32 v3, v30
	s_delay_alu instid0(VALU_DEP_3)
	v_div_fmas_f32 v4, v4, v29, v11
	ds_swizzle_b32 v11, v28 offset:swizzle(BROADCAST,32,15)
	v_mul_f32_e32 v15, v13, v17
	v_rcp_f32_e32 v29, v26
	s_mov_b32 vcc_lo, s2
	v_fma_f32 v14, -v24, v25, 1.0
	v_div_fixup_f32 v4, v4, v30, v2
	v_fma_f32 v2, -v12, v15, v13
	s_delay_alu instid0(VALU_DEP_3) | instskip(NEXT) | instid1(TRANS32_DEP_1)
	v_fmac_f32_e32 v25, v14, v25
	v_fma_f32 v14, -v26, v29, 1.0
	s_delay_alu instid0(VALU_DEP_3)
	v_fmac_f32_e32 v15, v2, v17
	s_wait_dscnt 0x2
	v_dual_mov_b32 v2, v10 :: v_dual_add_f32 v4, v4, v21
	v_mul_f32_e32 v34, v32, v25
	v_fmac_f32_e32 v29, v14, v29
	v_fma_f32 v21, -v12, v15, v13
	s_wait_dscnt 0x0
	v_pk_mul_f32 v[12:13], v[2:3], v[10:11] op_sel_hi:[1,0]
	s_delay_alu instid0(VALU_DEP_1) | instskip(NEXT) | instid1(VALU_DEP_1)
	v_mov_b32_e32 v14, v13
	v_pk_fma_f32 v[2:3], v[2:3], v[10:11], v[14:15] op_sel_hi:[1,0,1] neg_lo:[0,0,1] neg_hi:[0,0,1]
	v_dual_mov_b32 v14, v5 :: v_dual_fma_f32 v35, -v24, v34, v32
	s_delay_alu instid0(VALU_DEP_1)
	v_dual_mov_b32 v3, v10 :: v_dual_fmac_f32 v34, v35, v25
	v_div_fmas_f32 v13, v21, v17, v15
	v_mov_b32_e32 v15, v30
	s_mov_b32 vcc_lo, s3
	v_mov_b32_e32 v21, v30
	v_cmp_gt_f32_e64 s3, v44, v36
	v_div_fixup_f32 v8, v13, v9, v8
	v_dual_fma_f32 v9, -v24, v34, v32 :: v_dual_mul_f32 v17, v37, v29
	v_sub_f32_e32 v16, v16, v33
	v_pk_add_f32 v[2:3], v[14:15], v[2:3]
	s_delay_alu instid0(VALU_DEP_4) | instskip(NEXT) | instid1(VALU_DEP_4)
	v_add_f32_e32 v35, v27, v8
	v_div_fmas_f32 v9, v9, v25, v34
	s_delay_alu instid0(VALU_DEP_4) | instskip(SKIP_2) | instid1(VALU_DEP_3)
	v_dual_fma_f32 v13, -v26, v17, v37 :: v_dual_mul_f32 v34, v16, v16
	v_mul_f32_e32 v32, v30, v16
	s_mov_b32 vcc_lo, s4
	v_div_fixup_f32 v38, v9, v30, v6
	s_delay_alu instid0(VALU_DEP_3) | instskip(NEXT) | instid1(VALU_DEP_3)
	v_dual_fmac_f32 v17, v13, v29 :: v_dual_mul_f32 v14, v34, v10
	v_div_scale_f32 v13, null, v3, v3, v32
	s_delay_alu instid0(VALU_DEP_2) | instskip(SKIP_1) | instid1(VALU_DEP_3)
	v_dual_mov_b32 v9, v3 :: v_dual_fma_f32 v6, -v26, v17, v37
	v_mov_b32_e32 v27, v3
	v_rcp_f32_e32 v37, v13
	v_cndmask_b32_e64 v36, v36, v44, s3
	s_delay_alu instid0(VALU_DEP_3) | instskip(SKIP_2) | instid1(TRANS32_DEP_1)
	v_div_fmas_f32 v29, v6, v29, v17
	v_dual_mov_b32 v6, v11 :: v_dual_mov_b32 v8, v30
	v_mul_f32_e32 v39, v30, v14
	v_fma_f32 v17, -v13, v37, 1.0
	v_mul_f32_e32 v15, v16, v34
	s_delay_alu instid0(VALU_DEP_4) | instskip(SKIP_2) | instid1(VALU_DEP_4)
	v_pk_mul_f32 v[24:25], v[30:31], v[6:7]
	v_mul_f32_e32 v14, v28, v10
	v_div_scale_f32 v40, null, v3, v3, v39
	v_dual_fmac_f32 v37, v17, v37 :: v_dual_mul_f32 v6, v16, v15
	v_mul_f32_e32 v17, v15, v10
	s_delay_alu instid0(VALU_DEP_3) | instskip(SKIP_1) | instid1(VALU_DEP_3)
	v_rcp_f32_e32 v41, v40
	v_dual_mov_b32 v15, v10 :: v_dual_mov_b32 v25, v30
	v_mul_f32_e32 v26, v6, v10
	s_delay_alu instid0(VALU_DEP_3) | instskip(SKIP_1) | instid1(VALU_DEP_4)
	v_pk_mul_f32 v[20:21], v[20:21], v[16:17]
	v_div_scale_f32 v31, vcc_lo, v32, v3, v32
	v_pk_add_f32 v[14:15], v[14:15], v[24:25] neg_lo:[0,1] neg_hi:[0,1]
	s_delay_alu instid0(TRANS32_DEP_1)
	v_fma_f32 v42, -v40, v41, 1.0
	v_div_fixup_f32 v17, v29, v5, v7
	v_pk_mul_f32 v[6:7], v[8:9], v[26:27]
	v_mul_f32_e32 v24, v31, v37
	v_pk_mul_f32 v[8:9], v[20:21], v[14:15]
	v_fmac_f32_e32 v41, v42, v41
	v_div_scale_f32 v20, s2, v39, v3, v39
	ds_swizzle_b32 v14, v4 offset:swizzle(BROADCAST,32,15)
	v_div_scale_f32 v26, null, v7, v7, v9
	v_add_f32_e32 v15, v17, v35
	v_dual_fma_f32 v17, -v13, v24, v31 :: v_dual_mul_f32 v27, v20, v41
	s_delay_alu instid0(VALU_DEP_3) | instskip(SKIP_1) | instid1(VALU_DEP_2)
	v_rcp_f32_e32 v35, v26
	v_div_scale_f32 v42, null, v3, v3, v8
	v_dual_add_f32 v29, v38, v15 :: v_dual_fmac_f32 v24, v17, v37
	s_delay_alu instid0(VALU_DEP_3) | instskip(NEXT) | instid1(VALU_DEP_3)
	v_fma_f32 v15, -v40, v27, v20
	v_rcp_f32_e32 v43, v42
	s_delay_alu instid0(TRANS32_DEP_2) | instskip(SKIP_4) | instid1(VALU_DEP_3)
	v_fma_f32 v17, -v26, v35, 1.0
	ds_swizzle_b32 v38, v29 offset:swizzle(BROADCAST,32,15)
	v_fma_f32 v13, -v13, v24, v31
	v_dual_fmac_f32 v27, v15, v41 :: v_dual_mov_b32 v31, v28
	v_dual_mov_b32 v15, v12 :: v_dual_fmac_f32 v35, v17, v35
	v_div_fmas_f32 v37, v13, v37, v24
	s_delay_alu instid0(VALU_DEP_3) | instskip(SKIP_1) | instid1(VALU_DEP_3)
	v_dual_fma_f32 v40, -v40, v27, v20 :: v_dual_mov_b32 v17, v34
	s_wait_dscnt 0x1
	v_pk_mul_f32 v[12:13], v[30:31], v[14:15]
	v_div_scale_f32 v15, s3, v9, v7, v9
	v_pk_mul_f32 v[24:25], v[2:3], v[6:7]
	v_pk_mul_f32 v[16:17], v[16:17], v[22:23]
	s_delay_alu instid0(VALU_DEP_4) | instskip(SKIP_3) | instid1(VALU_DEP_4)
	v_pk_fma_f32 v[20:21], v[4:5], v[10:11], v[12:13]
	v_pk_fma_f32 v[12:13], v[4:5], v[10:11], v[12:13] neg_lo:[0,0,1] neg_hi:[0,0,1]
	v_mul_f32_e32 v2, v15, v35
	v_div_scale_f32 v5, null, v25, v25, v24
	v_mov_b32_e32 v13, v21
	v_fma_f32 v20, -v42, v43, 1.0
	s_mov_b32 vcc_lo, s2
	s_delay_alu instid0(VALU_DEP_3) | instskip(SKIP_4) | instid1(TRANS32_DEP_1)
	v_rcp_f32_e32 v10, v5
	v_div_scale_f32 v6, s4, v8, v3, v8
	v_pk_mul_f32 v[12:13], v[16:17], v[12:13]
	v_div_fmas_f32 v17, v40, v41, v27
	s_mov_b32 vcc_lo, s3
	v_fma_f32 v21, -v5, v10, 1.0
	s_delay_alu instid0(VALU_DEP_3) | instskip(SKIP_1) | instid1(VALU_DEP_3)
	v_div_scale_f32 v16, null, v3, v3, v12
	v_div_scale_f32 v27, null, v7, v7, v13
	v_dual_fmac_f32 v43, v20, v43 :: v_dual_fmac_f32 v10, v21, v10
	s_delay_alu instid0(VALU_DEP_3) | instskip(NEXT) | instid1(VALU_DEP_2)
	v_rcp_f32_e32 v22, v16
	v_rcp_f32_e32 v31, v27
	v_fma_f32 v20, -v26, v2, v15
	v_div_scale_f32 v21, s2, v24, v25, v24
	v_mul_f32_e32 v23, v6, v43
	s_delay_alu instid0(TRANS32_DEP_2) | instskip(NEXT) | instid1(VALU_DEP_3)
	v_fma_f32 v30, -v16, v22, 1.0
	v_dual_mul_f32 v34, v21, v10 :: v_dual_fmac_f32 v2, v20, v35
	s_delay_alu instid0(VALU_DEP_3) | instskip(SKIP_1) | instid1(VALU_DEP_4)
	v_fma_f32 v20, -v42, v23, v6
	v_fma_f32 v40, -v27, v31, 1.0
	v_fmac_f32_e32 v22, v30, v22
	v_div_scale_f32 v30, s5, v12, v3, v12
	s_delay_alu instid0(VALU_DEP_4) | instskip(SKIP_1) | instid1(VALU_DEP_3)
	v_dual_fmac_f32 v23, v20, v43 :: v_dual_fma_f32 v20, -v5, v34, v21
	v_fma_f32 v15, -v26, v2, v15
	v_dual_mul_f32 v26, v30, v22 :: v_dual_fmac_f32 v31, v40, v31
	v_div_scale_f32 v40, s6, v13, v7, v13
	s_delay_alu instid0(VALU_DEP_4) | instskip(SKIP_2) | instid1(VALU_DEP_4)
	v_fmac_f32_e32 v34, v20, v10
	v_fma_f32 v6, -v42, v23, v6
	v_div_fmas_f32 v2, v15, v35, v2
	v_mul_f32_e32 v20, v40, v31
	s_mov_b32 vcc_lo, s4
	v_fma_f32 v5, -v5, v34, v21
	v_div_fmas_f32 v6, v6, v43, v23
	s_mov_b32 vcc_lo, s2
	v_dual_fma_f32 v21, -v27, v20, v40 :: v_dual_fma_f32 v15, -v16, v26, v30
	s_delay_alu instid0(VALU_DEP_3) | instskip(SKIP_2) | instid1(VALU_DEP_3)
	v_div_fmas_f32 v5, v5, v10, v34
	v_add_f32_e32 v10, v28, v11
	s_mov_b32 vcc_lo, s5
	v_dual_fmac_f32 v20, v21, v31 :: v_dual_fmac_f32 v26, v15, v22
	s_wait_dscnt 0x0
	v_add_f32_e32 v11, v29, v38
	v_div_fixup_f32 v5, v5, v25, v24
	v_div_fixup_f32 v2, v2, v7, v9
	v_div_fixup_f32 v9, v17, v3, v39
	v_dual_fma_f32 v15, -v16, v26, v30 :: v_dual_fma_f32 v16, -v27, v20, v40
	s_delay_alu instid0(VALU_DEP_4) | instskip(SKIP_1) | instid1(VALU_DEP_4)
	v_add_f32_e32 v5, v11, v5
	v_div_fixup_f32 v6, v6, v3, v8
	v_add_f32_e32 v9, v10, v9
	s_delay_alu instid0(VALU_DEP_4) | instskip(SKIP_3) | instid1(VALU_DEP_1)
	v_div_fmas_f32 v15, v15, v22, v26
	s_mov_b32 vcc_lo, s6
	s_mov_b32 s2, exec_lo
	v_div_fmas_f32 v16, v16, v31, v20
	v_div_fixup_f32 v7, v16, v7, v13
	v_add_f32_e32 v4, v4, v14
	v_div_fixup_f32 v14, v37, v3, v32
	s_delay_alu instid0(VALU_DEP_2) | instskip(SKIP_2) | instid1(VALU_DEP_4)
	v_dual_add_f32 v5, v7, v5 :: v_dual_add_f32 v2, v4, v2
	v_mov_b32_e32 v7, 0
	v_div_fixup_f32 v4, v15, v3, v12
	v_add_f32_e32 v8, v14, v33
	s_delay_alu instid0(VALU_DEP_4)
	v_add_f32_e32 v6, v6, v2
	ds_bpermute_b32 v2, v7, v3 offset:124
	v_add_f32_e32 v4, v4, v5
	ds_bpermute_b32 v14, v7, v1 offset:124
	ds_bpermute_b32 v15, v7, v36 offset:124
	;; [unrolled: 1-line block ×6, first 2 shown]
	v_mbcnt_lo_u32_b32 v1, -1, 0
	s_delay_alu instid0(VALU_DEP_1)
	v_cmpx_eq_u32_e32 0, v1
	s_cbranch_execz .LBB9_16
; %bb.15:
	v_lshrrev_b32_e32 v3, 5, v0
	s_delay_alu instid0(VALU_DEP_1)
	v_mul_u32_u24_e32 v3, 28, v3
	s_wait_dscnt 0x5
	ds_store_2addr_b32 v3, v2, v14 offset0:112 offset1:113
	s_wait_dscnt 0x4
	ds_store_2addr_b32 v3, v15, v5 offset0:114 offset1:115
	;; [unrolled: 2-line block ×3, first 2 shown]
	s_wait_dscnt 0x3
	ds_store_b32 v3, v4 offset:472
.LBB9_16:
	s_or_b32 exec_lo, exec_lo, s2
	s_delay_alu instid0(SALU_CYCLE_1)
	s_mov_b32 s7, exec_lo
	s_wait_dscnt 0x0
	s_barrier_signal -1
	s_barrier_wait -1
	v_cmpx_gt_u32_e32 32, v0
	s_cbranch_execz .LBB9_18
; %bb.17:
	v_dual_lshlrev_b32 v20, 2, v1 :: v_dual_bitop2_b32 v11, 7, v1 bitop3:0x40
	v_mov_b32_e32 v16, 4.0
	v_mov_b64_e32 v[12:13], 0x40c0000040800000
	s_delay_alu instid0(VALU_DEP_3) | instskip(SKIP_1) | instid1(VALU_DEP_1)
	v_cmp_ne_u32_e32 vcc_lo, 7, v11
	v_add_co_ci_u32_e64 v8, null, 0, v1, vcc_lo
	v_lshlrev_b32_e32 v8, 2, v8
	v_mul_u32_u24_e32 v6, 28, v11
	v_cmp_gt_u32_e32 vcc_lo, 6, v11
	ds_load_2addr_b32 v[2:3], v6 offset0:112 offset1:115
	ds_load_b32 v15, v6 offset:472
	ds_load_2addr_b32 v[4:5], v6 offset0:113 offset1:114
	ds_load_2addr_b32 v[6:7], v6 offset0:116 offset1:117
	v_cndmask_b32_e64 v11, 0, 2, vcc_lo
	v_mov_b32_e32 v14, 0x40400000
	v_or_b32_e32 v33, 16, v20
	s_delay_alu instid0(VALU_DEP_3)
	v_add_lshl_u32 v1, v11, v1, 2
	s_wait_dscnt 0x3
	ds_bpermute_b32 v17, v8, v3
	s_wait_dscnt 0x3
	ds_bpermute_b32 v24, v8, v15
	;; [unrolled: 2-line block ×3, first 2 shown]
	ds_bpermute_b32 v28, v8, v4
	ds_bpermute_b32 v9, v8, v2
	s_wait_dscnt 0x5
	ds_bpermute_b32 v10, v8, v7
	ds_bpermute_b32 v8, v8, v6
	v_dual_mov_b32 v21, v7 :: v_dual_mul_f32 v20, v2, v2
	v_dual_mov_b32 v22, v6 :: v_dual_mov_b32 v25, v2
	s_wait_dscnt 0x6
	v_dual_mov_b32 v23, v2 :: v_dual_sub_f32 v26, v17, v3
	s_wait_dscnt 0x4
	v_cmp_lt_f32_e32 vcc_lo, v5, v27
	s_wait_dscnt 0x2
	v_dual_add_f32 v35, v15, v24 :: v_dual_mov_b32 v15, v9
	v_mul_f32_e32 v29, v26, v9
	s_wait_dscnt 0x0
	v_dual_mul_f32 v24, v2, v8 :: v_dual_cndmask_b32 v37, v5, v27
	v_cmp_lt_f32_e32 vcc_lo, v28, v4
	v_mul_f32_e32 v27, v26, v26
	v_pk_mul_f32 v[30:31], v[8:9], v[8:9]
	v_pk_add_f32 v[22:23], v[22:23], v[8:9]
	v_dual_fma_f32 v11, -v2, v9, v20 :: v_dual_cndmask_b32 v40, v4, v28, vcc_lo
	v_dual_add_f32 v17, v7, v10 :: v_dual_mov_b32 v4, v9
	v_pk_mul_f32 v[20:21], v[20:21], v[8:9]
	v_mul_f32_e32 v8, v2, v27
	v_mul_f32_e32 v30, v26, v27
	v_pk_mul_f32 v[12:13], v[26:27], v[12:13]
	v_pk_mul_f32 v[4:5], v[6:7], v[4:5]
	s_delay_alu instid0(VALU_DEP_4) | instskip(NEXT) | instid1(VALU_DEP_4)
	v_dual_mov_b32 v5, v9 :: v_dual_mul_f32 v7, v8, v9
	v_dual_mul_f32 v27, v2, v30 :: v_dual_mov_b32 v28, v9
	v_div_scale_f32 v34, null, v23, v23, v29
	s_delay_alu instid0(VALU_DEP_3) | instskip(NEXT) | instid1(VALU_DEP_3)
	v_pk_add_f32 v[4:5], v[24:25], v[4:5] neg_lo:[0,1] neg_hi:[0,1]
	v_pk_mul_f32 v[8:9], v[26:27], v[14:15]
	v_div_scale_f32 v36, null, v23, v23, v7
	s_delay_alu instid0(VALU_DEP_4) | instskip(SKIP_1) | instid1(VALU_DEP_3)
	v_rcp_f32_e32 v38, v34
	v_div_scale_f32 v39, vcc_lo, v7, v23, v7
	v_pk_mul_f32 v[8:9], v[8:9], v[4:5]
	s_delay_alu instid0(VALU_DEP_3) | instskip(SKIP_1) | instid1(TRANS32_DEP_2)
	v_rcp_f32_e32 v24, v36
	v_div_scale_f32 v15, s2, v29, v23, v29
	v_fma_f32 v27, -v34, v38, 1.0
	s_delay_alu instid0(VALU_DEP_3)
	v_div_scale_f32 v43, null, v23, v23, v8
	ds_bpermute_b32 v5, v1, v23
	v_fma_f32 v4, -v36, v24, 1.0
	v_mov_b32_e32 v25, v23
	v_rcp_f32_e32 v45, v43
	v_div_scale_f32 v49, s3, v8, v23, v8
	s_delay_alu instid0(VALU_DEP_3) | instskip(SKIP_3) | instid1(VALU_DEP_1)
	v_fmac_f32_e32 v24, v4, v24
	ds_bpermute_b32 v41, v1, v40
	ds_bpermute_b32 v42, v1, v37
	v_fma_f32 v48, -v43, v45, 1.0
	v_dual_mul_f32 v4, v39, v24 :: v_dual_fmac_f32 v45, v48, v45
	s_delay_alu instid0(VALU_DEP_1) | instskip(SKIP_1) | instid1(VALU_DEP_2)
	v_dual_fmac_f32 v38, v27, v38 :: v_dual_fma_f32 v32, -v36, v4, v39
	v_dual_mul_f32 v26, v26, v30 :: v_dual_mov_b32 v27, v23
	v_dual_mul_f32 v46, v15, v38 :: v_dual_fmac_f32 v4, v32, v24
	v_dual_add_f32 v44, v31, v11 :: v_dual_mov_b32 v11, v31
	v_dual_mov_b32 v31, v23 :: v_dual_mov_b32 v32, v23
	s_delay_alu instid0(VALU_DEP_3) | instskip(SKIP_2) | instid1(VALU_DEP_2)
	v_fma_f32 v47, -v34, v46, v15
	s_wait_dscnt 0x2
	v_dual_fma_f32 v30, -v36, v4, v39 :: v_dual_mov_b32 v36, v5
	v_fmac_f32_e32 v46, v47, v38
	s_delay_alu instid0(VALU_DEP_2) | instskip(SKIP_2) | instid1(VALU_DEP_3)
	v_div_fmas_f32 v4, v30, v24, v4
	s_mov_b32 vcc_lo, s2
	v_dual_mul_f32 v47, v49, v45 :: v_dual_mul_f32 v26, v2, v26
	v_dual_fma_f32 v15, -v34, v46, v15 :: v_dual_mov_b32 v34, v5
	s_delay_alu instid0(VALU_DEP_3) | instskip(NEXT) | instid1(VALU_DEP_3)
	v_div_fixup_f32 v24, v4, v23, v7
	v_fma_f32 v4, -v43, v47, v49
	s_delay_alu instid0(VALU_DEP_3) | instskip(SKIP_1) | instid1(VALU_DEP_4)
	v_div_fmas_f32 v15, v15, v38, v46
	v_sub_f32_e32 v46, v23, v5
	v_pk_mul_f32 v[38:39], v[22:23], v[24:25]
	s_delay_alu instid0(VALU_DEP_3) | instskip(SKIP_1) | instid1(VALU_DEP_3)
	v_div_fixup_f32 v7, v15, v23, v29
	v_fmac_f32_e32 v47, v4, v45
	v_div_scale_f32 v48, null, v39, v39, v9
	v_mov_b32_e32 v29, v39
	s_delay_alu instid0(VALU_DEP_4) | instskip(SKIP_1) | instid1(VALU_DEP_3)
	v_dual_add_f32 v30, v3, v7 :: v_dual_mov_b32 v3, v6
	v_pk_add_f32 v[6:7], v[22:23], v[24:25]
	v_pk_mul_f32 v[26:27], v[26:27], v[28:29]
	ds_bpermute_b32 v4, v1, v30
	v_pk_fma_f32 v[24:25], v[2:3], v[10:11], v[20:21] op_sel:[0,0,1] op_sel_hi:[1,1,0]
	v_rcp_f32_e32 v24, v48
	v_pk_fma_f32 v[2:3], v[2:3], v[10:11], v[20:21] op_sel:[0,0,1] op_sel_hi:[1,1,0] neg_lo:[0,0,1] neg_hi:[0,0,1]
	v_fma_f32 v43, -v43, v47, v49
	v_div_scale_f32 v28, vcc_lo, v9, v39, v9
	v_mov_b32_e32 v3, v25
	ds_bpermute_b32 v15, v1, v6
	v_fma_f32 v10, -v48, v24, 1.0
	v_mul_f32_e32 v26, v44, v26
	v_pk_mul_f32 v[2:3], v[12:13], v[2:3]
	s_delay_alu instid0(VALU_DEP_3) | instskip(NEXT) | instid1(VALU_DEP_3)
	v_fmac_f32_e32 v24, v10, v24
	v_div_scale_f32 v29, null, v27, v27, v26
	s_delay_alu instid0(VALU_DEP_3) | instskip(NEXT) | instid1(VALU_DEP_4)
	v_div_scale_f32 v49, null, v39, v39, v3
	v_div_scale_f32 v50, null, v23, v23, v2
	s_delay_alu instid0(VALU_DEP_3) | instskip(NEXT) | instid1(VALU_DEP_2)
	v_rcp_f32_e32 v52, v29
	v_rcp_f32_e32 v53, v49
	s_wait_dscnt 0x1
	v_pk_add_f32 v[10:11], v[30:31], v[4:5]
	v_mul_f32_e32 v25, v28, v24
	v_pk_add_f32 v[12:13], v[4:5], v[30:31] neg_lo:[0,1] neg_hi:[0,1]
	v_rcp_f32_e32 v54, v50
	v_div_scale_f32 v51, s4, v3, v39, v3
	v_fma_f32 v20, -v29, v52, 1.0
	v_dual_mov_b32 v13, v11 :: v_dual_fma_f32 v4, -v48, v25, v28
	v_fma_f32 v31, -v49, v53, 1.0
	v_div_scale_f32 v44, s2, v26, v27, v26
	s_delay_alu instid0(VALU_DEP_4) | instskip(NEXT) | instid1(VALU_DEP_4)
	v_fmac_f32_e32 v52, v20, v52
	v_pk_mul_f32 v[20:21], v[12:13], v[12:13]
	s_delay_alu instid0(VALU_DEP_4) | instskip(SKIP_3) | instid1(VALU_DEP_4)
	v_fmac_f32_e32 v53, v31, v53
	v_dual_mov_b32 v13, v23 :: v_dual_fmac_f32 v25, v4, v24
	v_div_scale_f32 v55, s5, v2, v23, v2
	v_fma_f32 v56, -v50, v54, 1.0
	v_mul_f32_e32 v31, v51, v53
	s_delay_alu instid0(VALU_DEP_4) | instskip(SKIP_1) | instid1(VALU_DEP_2)
	v_fma_f32 v4, -v48, v25, v28
	v_mul_f32_e32 v28, v44, v52
	v_div_fmas_f32 v4, v4, v24, v25
	s_delay_alu instid0(VALU_DEP_4) | instskip(NEXT) | instid1(VALU_DEP_3)
	v_dual_fma_f32 v25, -v49, v31, v51 :: v_dual_fmac_f32 v54, v56, v54
	v_fma_f32 v24, -v29, v28, v44
	s_mov_b32 vcc_lo, s3
	s_delay_alu instid0(VALU_DEP_3)
	v_div_fixup_f32 v4, v4, v39, v9
	v_div_fmas_f32 v43, v43, v45, v47
	v_dual_mul_f32 v48, v55, v54 :: v_dual_mul_f32 v45, v12, v20
	v_dual_fmac_f32 v31, v25, v53 :: v_dual_fmac_f32 v28, v24, v52
	s_wait_dscnt 0x0
	v_pk_mul_f32 v[24:25], v[12:13], v[14:15]
	s_delay_alu instid0(VALU_DEP_3)
	v_fma_f32 v47, -v50, v48, v55
	v_div_fixup_f32 v8, v43, v23, v8
	v_add_f32_e32 v4, v17, v4
	v_fma_f32 v13, -v49, v31, v51
	v_fma_f32 v9, -v29, v28, v44
	v_fmac_f32_e32 v48, v47, v54
	s_mov_b32 vcc_lo, s2
	v_dual_mov_b32 v17, v5 :: v_dual_add_f32 v4, v8, v4
	s_delay_alu instid0(VALU_DEP_3) | instskip(NEXT) | instid1(VALU_DEP_3)
	v_div_fmas_f32 v9, v9, v52, v28
	v_fma_f32 v14, -v50, v48, v55
	s_mov_b32 vcc_lo, s4
	v_mul_f32_e32 v28, v12, v5
	v_div_fmas_f32 v8, v13, v53, v31
	s_mov_b32 vcc_lo, s5
	v_div_fixup_f32 v9, v9, v27, v26
	ds_bpermute_b32 v27, v1, v4
	v_div_fmas_f32 v13, v14, v54, v48
	v_div_fixup_f32 v3, v8, v39, v3
	v_mul_f32_e32 v14, v23, v45
	v_mov_b32_e32 v26, v15
	s_delay_alu instid0(VALU_DEP_4) | instskip(SKIP_4) | instid1(VALU_DEP_4)
	v_div_fixup_f32 v13, v13, v23, v2
	v_add_f32_e32 v8, v35, v9
	v_fma_f32 v25, -v6, v5, v25
	v_mul_f32_e32 v2, v12, v45
	v_div_scale_f32 v35, null, v11, v11, v28
	v_add_f32_e32 v3, v3, v8
	v_pk_mul_f32 v[8:9], v[32:33], v[20:21]
	v_mul_f32_e32 v14, v14, v5
	s_delay_alu instid0(VALU_DEP_4) | instskip(NEXT) | instid1(VALU_DEP_3)
	v_rcp_f32_e32 v43, v35
	v_dual_add_f32 v31, v13, v3 :: v_dual_mov_b32 v13, v4
	v_pk_mul_f32 v[2:3], v[22:23], v[2:3] op_sel_hi:[1,0]
	s_wait_dscnt 0x0
	v_add_f32_e32 v32, v4, v27
	v_mov_b32_e32 v4, 0x40c00000
	v_mov_b32_e32 v22, v5
	v_pk_mul_f32 v[12:13], v[12:13], v[16:17]
	v_mov_b32_e32 v21, v3
	ds_bpermute_b32 v16, v33, v11
	v_dual_mul_f32 v29, v24, v25 :: v_dual_mul_f32 v14, v46, v14
	v_fma_f32 v13, v23, v27, -v13
	v_pk_mul_f32 v[20:21], v[20:21], v[4:5]
	v_dual_mov_b32 v24, v39 :: v_dual_mov_b32 v25, v5
	v_fma_f32 v17, -v35, v43, 1.0
	s_delay_alu instid0(VALU_DEP_4) | instskip(SKIP_2) | instid1(VALU_DEP_4)
	v_dual_mov_b32 v27, v5 :: v_dual_mul_f32 v5, v12, v13
	v_pk_mul_f32 v[2:3], v[22:23], v[36:37] op_sel_hi:[1,0]
	v_div_scale_f32 v44, null, v11, v11, v29
	v_fmac_f32_e32 v43, v17, v43
	s_delay_alu instid0(VALU_DEP_4)
	v_div_scale_f32 v45, null, v11, v11, v5
	v_pk_fma_f32 v[12:13], v[22:23], v[36:37], v[38:39] op_sel_hi:[1,0,1] neg_lo:[1,0,0] neg_hi:[1,0,0]
	v_pk_mul_f32 v[2:3], v[6:7], v[2:3]
	v_rcp_f32_e32 v7, v44
	v_div_scale_f32 v46, vcc_lo, v28, v11, v28
	v_mov_b32_e32 v17, v11
	v_rcp_f32_e32 v12, v45
	v_div_scale_f32 v39, s2, v29, v11, v29
	s_delay_alu instid0(VALU_DEP_3)
	v_mul_f32_e32 v36, v46, v43
	s_wait_dscnt 0x0
	v_pk_mul_f32 v[22:23], v[16:17], v[16:17]
	v_fma_f32 v3, -v44, v7, 1.0
	v_pk_mul_f32 v[8:9], v[8:9], v[34:35]
	v_fma_f32 v47, -v45, v12, 1.0
	ds_bpermute_b32 v1, v1, v31
	v_div_scale_f32 v38, null, v23, v23, v14
	v_dual_fmac_f32 v7, v3, v7 :: v_dual_mov_b32 v3, v13
	v_fma_f32 v13, -v35, v36, v46
	v_fmac_f32_e32 v12, v47, v12
	v_div_scale_f32 v47, s3, v5, v11, v5
	v_rcp_f32_e32 v48, v38
	v_pk_fma_f32 v[2:3], v[24:25], v[26:27], v[2:3]
	s_delay_alu instid0(VALU_DEP_2) | instskip(SKIP_2) | instid1(TRANS32_DEP_1)
	v_dual_fmac_f32 v36, v13, v43 :: v_dual_mul_f32 v24, v47, v12
	v_mul_f32_e32 v49, v39, v7
	v_div_scale_f32 v25, s4, v14, v23, v14
	v_fma_f32 v50, -v38, v48, 1.0
	v_pk_mul_f32 v[2:3], v[20:21], v[2:3]
	s_delay_alu instid0(VALU_DEP_4) | instskip(SKIP_3) | instid1(VALU_DEP_3)
	v_dual_fma_f32 v13, -v44, v49, v39 :: v_dual_fma_f32 v20, -v35, v36, v46
	v_add_f32_e32 v6, v6, v15
	s_wait_dscnt 0x0
	v_dual_fmac_f32 v48, v50, v48 :: v_dual_add_f32 v1, v31, v1
	v_fmac_f32_e32 v49, v13, v7
	v_fma_f32 v13, -v45, v24, v47
	v_div_fmas_f32 v20, v20, v43, v36
	s_mov_b32 vcc_lo, s2
	v_div_scale_f32 v35, s2, v2, v23, v2
	s_delay_alu instid0(VALU_DEP_3) | instskip(SKIP_1) | instid1(VALU_DEP_1)
	v_fmac_f32_e32 v24, v13, v12
	v_dual_mul_f32 v21, v25, v48 :: v_dual_fma_f32 v26, -v44, v49, v39
	v_dual_mul_f32 v31, v11, v16 :: v_dual_fma_f32 v13, -v38, v21, v25
	s_delay_alu instid0(VALU_DEP_2) | instskip(NEXT) | instid1(VALU_DEP_4)
	v_div_fmas_f32 v7, v26, v7, v49
	v_fma_f32 v26, -v45, v24, v47
	s_mov_b32 vcc_lo, s3
	s_delay_alu instid0(VALU_DEP_3) | instskip(NEXT) | instid1(VALU_DEP_3)
	v_fmac_f32_e32 v21, v13, v48
	v_div_fixup_f32 v7, v7, v11, v29
	s_delay_alu instid0(VALU_DEP_3)
	v_div_fmas_f32 v24, v26, v12, v24
	v_pk_mul_f32 v[12:13], v[10:11], v[22:23]
	v_div_scale_f32 v12, null, v11, v11, v8
	v_fma_f32 v9, -v38, v21, v25
	v_div_scale_f32 v25, null, v23, v23, v2
	s_mov_b32 vcc_lo, s4
	v_rcp_f32_e32 v26, v12
	v_div_scale_f32 v27, null, v13, v13, v3
	v_div_fmas_f32 v9, v9, v48, v21
	v_rcp_f32_e32 v29, v25
	v_div_scale_f32 v38, s3, v3, v13, v3
	s_delay_alu instid0(VALU_DEP_3) | instskip(NEXT) | instid1(VALU_DEP_2)
	v_rcp_f32_e32 v34, v27
	v_div_fixup_f32 v14, v9, v23, v14
	v_fma_f32 v21, -v12, v26, 1.0
	v_mov_b32_e32 v9, v7
	s_delay_alu instid0(TRANS32_DEP_2)
	v_fma_f32 v7, -v25, v29, 1.0
	v_div_fixup_f32 v5, v24, v11, v5
	v_add_f32_e32 v15, v32, v14
	v_fmac_f32_e32 v26, v21, v26
	v_div_scale_f32 v32, vcc_lo, v8, v11, v8
	v_fma_f32 v14, -v27, v34, 1.0
	v_fmac_f32_e32 v29, v7, v29
	v_div_fixup_f32 v7, v20, v11, v28
	s_delay_alu instid0(VALU_DEP_4) | instskip(NEXT) | instid1(VALU_DEP_3)
	v_mul_f32_e32 v36, v32, v26
	v_dual_fmac_f32 v34, v14, v34 :: v_dual_mul_f32 v39, v35, v29
	s_delay_alu instid0(VALU_DEP_2) | instskip(NEXT) | instid1(VALU_DEP_2)
	v_dual_mov_b32 v14, v11 :: v_dual_fma_f32 v20, -v12, v36, v32
	v_dual_mul_f32 v28, v38, v34 :: v_dual_fma_f32 v21, -v25, v39, v35
	s_delay_alu instid0(VALU_DEP_2) | instskip(NEXT) | instid1(VALU_DEP_3)
	v_pk_add_f32 v[14:15], v[8:9], v[14:15]
	v_dual_add_f32 v9, v30, v7 :: v_dual_fmac_f32 v36, v20, v26
	s_delay_alu instid0(VALU_DEP_3) | instskip(SKIP_4) | instid1(VALU_DEP_2)
	v_dual_fma_f32 v14, -v27, v28, v38 :: v_dual_fmac_f32 v39, v21, v29
	ds_bpermute_b32 v7, v33, v15
	ds_bpermute_b32 v21, v33, v9
	v_fma_f32 v12, -v12, v36, v32
	v_dual_fmac_f32 v28, v14, v34 :: v_dual_fma_f32 v14, -v25, v39, v35
	v_div_fmas_f32 v12, v12, v26, v36
	s_delay_alu instid0(VALU_DEP_2)
	v_fma_f32 v20, -v27, v28, v38
	s_mov_b32 vcc_lo, s2
	v_mov_b32_e32 v26, v11
	v_div_fmas_f32 v25, v14, v29, v39
	s_mov_b32 vcc_lo, s3
	v_div_fixup_f32 v14, v12, v11, v8
	v_div_fmas_f32 v20, v20, v34, v28
	v_cmp_lt_f32_e32 vcc_lo, v37, v42
	s_delay_alu instid0(VALU_DEP_2)
	v_div_fixup_f32 v3, v20, v13, v3
	v_dual_mul_f32 v8, v15, v16 :: v_dual_cndmask_b32 v38, v37, v42, vcc_lo
	v_cmp_lt_f32_e32 vcc_lo, v41, v40
	s_wait_dscnt 0x1
	v_mul_f32_e32 v20, v11, v7
	v_pk_add_f32 v[12:13], v[14:15], v[6:7]
	v_div_fixup_f32 v7, v25, v23, v2
	v_dual_add_f32 v1, v1, v3 :: v_dual_cndmask_b32 v39, v40, v41, vcc_lo
	s_wait_dscnt 0x0
	v_pk_add_f32 v[2:3], v[20:21], v[8:9] neg_lo:[0,1] neg_hi:[0,1]
	v_dual_mov_b32 v15, v16 :: v_dual_mov_b32 v8, v11
	s_delay_alu instid0(VALU_DEP_3) | instskip(NEXT) | instid1(VALU_DEP_3)
	v_dual_add_f32 v1, v7, v1 :: v_dual_mov_b32 v21, v12
	v_dual_mov_b32 v20, v3 :: v_dual_mul_f32 v14, 4.0, v3
	v_dual_mov_b32 v24, v3 :: v_dual_mov_b32 v25, v16
	s_delay_alu instid0(VALU_DEP_3)
	v_add_f32_e32 v1, v5, v1
	ds_bpermute_b32 v6, v33, v12
	v_pk_mul_f32 v[14:15], v[2:3], v[14:15]
	v_add_f32_e32 v2, v11, v16
	v_pk_mul_f32 v[28:29], v[20:21], v[24:25]
	v_dual_mov_b32 v32, v23 :: v_dual_mov_b32 v30, v12
	ds_bpermute_b32 v40, v33, v39
	v_div_scale_f32 v5, null, v2, v2, v15
	v_div_scale_f32 v45, null, v2, v2, v14
	v_dual_mul_f32 v44, v3, v28 :: v_dual_mov_b32 v7, v16
	s_delay_alu instid0(VALU_DEP_3) | instskip(NEXT) | instid1(VALU_DEP_2)
	v_rcp_f32_e32 v43, v5
	v_rcp_f32_e32 v46, v45
	ds_bpermute_b32 v41, v33, v38
	ds_bpermute_b32 v42, v33, v1
	v_mov_b32_e32 v33, v16
	v_pk_fma_f32 v[30:31], v[16:17], v[16:17], v[30:31] neg_lo:[0,0,1] neg_hi:[0,0,1]
	v_div_scale_f32 v47, vcc_lo, v15, v2, v15
	v_fma_f32 v34, -v5, v43, 1.0
	s_wait_dscnt 0x3
	v_dual_mul_f32 v17, v11, v44 :: v_dual_mul_f32 v27, v11, v6
	v_pk_mul_f32 v[22:23], v[22:23], v[12:13]
	s_delay_alu instid0(VALU_DEP_3) | instskip(NEXT) | instid1(VALU_DEP_3)
	v_fmac_f32_e32 v43, v34, v43
	v_pk_add_f32 v[36:37], v[10:11], v[16:17] op_sel:[1,0] neg_lo:[0,1] neg_hi:[0,1]
	v_dual_mul_f32 v34, v17, v16 :: v_dual_mov_b32 v37, v2
	s_delay_alu instid0(VALU_DEP_3) | instskip(SKIP_3) | instid1(VALU_DEP_4)
	v_dual_mov_b32 v35, v2 :: v_dual_mul_f32 v48, v47, v43
	v_fma_f32 v17, -v45, v46, 1.0
	v_mov_b32_e32 v23, v31
	v_pk_fma_f32 v[20:21], v[20:21], v[24:25], v[26:27] neg_lo:[1,0,0] neg_hi:[1,0,0]
	v_pk_mul_f32 v[30:31], v[36:37], v[34:35]
	v_fma_f32 v34, -v5, v48, v47
	v_fmac_f32_e32 v46, v17, v46
	v_div_scale_f32 v35, s2, v14, v2, v14
	v_pk_fma_f32 v[22:23], v[32:33], v[6:7], v[22:23]
	s_delay_alu instid0(VALU_DEP_4) | instskip(SKIP_1) | instid1(VALU_DEP_4)
	v_fmac_f32_e32 v48, v34, v43
	v_mul_f32_e32 v17, 0x40400000, v3
	v_mul_f32_e32 v7, v35, v46
	v_pk_mul_f32 v[24:25], v[8:9], v[28:29]
	v_dual_mul_f32 v8, v3, v44 :: v_dual_mov_b32 v25, v21
	v_div_scale_f32 v36, null, v31, v31, v30
	s_wait_dscnt 0x0
	v_add_f32_e32 v1, v1, v42
	s_delay_alu instid0(VALU_DEP_3) | instskip(SKIP_3) | instid1(VALU_DEP_3)
	v_pk_mul_f32 v[10:11], v[10:11], v[8:9] op_sel_hi:[1,0]
	v_fma_f32 v3, -v45, v7, v35
	v_pk_mul_f32 v[24:25], v[24:25], v[16:17]
	v_rcp_f32_e32 v26, v36
	v_mov_b32_e32 v29, v11
	s_delay_alu instid0(VALU_DEP_3) | instskip(SKIP_2) | instid1(VALU_DEP_2)
	v_pk_mul_f32 v[20:21], v[2:3], v[30:31] op_sel_hi:[0,1]
	v_dual_fma_f32 v20, -v5, v48, v47 :: v_dual_mov_b32 v5, v16
	v_div_scale_f32 v8, null, v2, v2, v25
	v_div_fmas_f32 v10, v20, v43, v48
	s_delay_alu instid0(VALU_DEP_3) | instskip(NEXT) | instid1(VALU_DEP_3)
	v_pk_mul_f32 v[4:5], v[28:29], v[4:5]
	v_rcp_f32_e32 v11, v8
	v_div_scale_f32 v20, null, v2, v2, v24
	s_mov_b32 vcc_lo, s2
	v_pk_mul_f32 v[4:5], v[4:5], v[22:23]
	v_div_scale_f32 v27, s2, v25, v2, v25
	s_delay_alu instid0(TRANS32_DEP_1) | instskip(SKIP_1) | instid1(VALU_DEP_3)
	v_fma_f32 v17, -v8, v11, 1.0
	v_rcp_f32_e32 v23, v20
	v_div_scale_f32 v22, null, v31, v31, v4
	v_div_scale_f32 v28, null, v21, v21, v5
	s_delay_alu instid0(VALU_DEP_3) | instskip(NEXT) | instid1(VALU_DEP_3)
	v_fmac_f32_e32 v11, v17, v11
	v_rcp_f32_e32 v17, v22
	s_delay_alu instid0(TRANS32_DEP_2) | instskip(NEXT) | instid1(VALU_DEP_1)
	v_fma_f32 v29, -v20, v23, 1.0
	v_fmac_f32_e32 v23, v29, v23
	s_delay_alu instid0(TRANS32_DEP_1) | instskip(SKIP_3) | instid1(VALU_DEP_3)
	v_fma_f32 v34, -v22, v17, 1.0
	v_fmac_f32_e32 v7, v3, v46
	v_fma_f32 v3, -v36, v26, 1.0
	v_div_scale_f32 v29, s4, v24, v2, v24
	v_dual_fmac_f32 v17, v34, v17 :: v_dual_fma_f32 v16, -v45, v7, v35
	s_delay_alu instid0(VALU_DEP_3) | instskip(SKIP_2) | instid1(VALU_DEP_3)
	v_fmac_f32_e32 v26, v3, v26
	v_div_scale_f32 v3, s3, v30, v31, v30
	v_rcp_f32_e32 v35, v28
	v_div_fmas_f32 v16, v16, v46, v7
	v_div_scale_f32 v34, s5, v4, v31, v4
	s_delay_alu instid0(VALU_DEP_3) | instskip(SKIP_1) | instid1(TRANS32_DEP_1)
	v_dual_mul_f32 v7, v3, v26 :: v_dual_mul_f32 v43, v29, v23
	s_mov_b32 vcc_lo, s3
	v_fma_f32 v37, -v28, v35, 1.0
	s_delay_alu instid0(VALU_DEP_2) | instskip(SKIP_1) | instid1(VALU_DEP_3)
	v_dual_mul_f32 v44, v34, v17 :: v_dual_fma_f32 v32, -v36, v7, v3
	v_mul_f32_e32 v33, v27, v11
	v_fmac_f32_e32 v35, v37, v35
	v_div_scale_f32 v37, s6, v5, v21, v5
	s_delay_alu instid0(VALU_DEP_4) | instskip(NEXT) | instid1(VALU_DEP_4)
	v_fmac_f32_e32 v7, v32, v26
	v_fma_f32 v32, -v8, v33, v27
	s_delay_alu instid0(VALU_DEP_2) | instskip(NEXT) | instid1(VALU_DEP_1)
	v_dual_fma_f32 v3, -v36, v7, v3 :: v_dual_fma_f32 v36, -v22, v44, v34
	v_div_fmas_f32 v3, v3, v26, v7
	s_delay_alu instid0(VALU_DEP_2) | instskip(NEXT) | instid1(VALU_DEP_4)
	v_fmac_f32_e32 v44, v36, v17
	v_fmac_f32_e32 v33, v32, v11
	v_fma_f32 v32, -v20, v43, v29
	v_mul_f32_e32 v45, v37, v35
	s_mov_b32 vcc_lo, s2
	s_delay_alu instid0(VALU_DEP_3) | instskip(NEXT) | instid1(VALU_DEP_3)
	v_fma_f32 v7, -v8, v33, v27
	v_fmac_f32_e32 v43, v32, v23
	s_delay_alu instid0(VALU_DEP_3) | instskip(NEXT) | instid1(VALU_DEP_1)
	v_fma_f32 v8, -v28, v45, v37
	v_dual_fmac_f32 v45, v8, v35 :: v_dual_fma_f32 v8, -v22, v44, v34
	s_delay_alu instid0(VALU_DEP_4) | instskip(NEXT) | instid1(VALU_DEP_4)
	v_div_fmas_f32 v11, v7, v11, v33
	v_fma_f32 v7, -v20, v43, v29
	s_mov_b32 vcc_lo, s4
	s_delay_alu instid0(VALU_DEP_2) | instskip(NEXT) | instid1(VALU_DEP_2)
	v_div_fixup_f32 v11, v11, v2, v25
	v_div_fmas_f32 v20, v7, v23, v43
	v_fma_f32 v7, -v28, v45, v37
	s_mov_b32 vcc_lo, s5
	v_div_fmas_f32 v8, v8, v17, v44
	s_mov_b32 vcc_lo, s6
	s_delay_alu instid0(VALU_DEP_2) | instskip(SKIP_1) | instid1(VALU_DEP_2)
	v_div_fmas_f32 v7, v7, v35, v45
	v_cmp_lt_f32_e32 vcc_lo, v38, v41
	v_div_fixup_f32 v17, v7, v21, v5
	v_div_fixup_f32 v7, v3, v31, v30
	;; [unrolled: 1-line block ×5, first 2 shown]
	v_add_f32_e32 v1, v1, v17
	v_pk_add_f32 v[6:7], v[12:13], v[6:7]
	v_div_fixup_f32 v10, v20, v2, v24
	v_cndmask_b32_e32 v15, v38, v41, vcc_lo
	v_cmp_lt_f32_e32 vcc_lo, v40, v39
	v_add_f32_e32 v8, v3, v1
	s_delay_alu instid0(VALU_DEP_4) | instskip(SKIP_1) | instid1(VALU_DEP_3)
	v_pk_add_f32 v[10:11], v[10:11], v[6:7]
	v_cndmask_b32_e32 v14, v39, v40, vcc_lo
	v_pk_add_f32 v[4:5], v[4:5], v[8:9]
.LBB9_18:
	s_or_b32 exec_lo, exec_lo, s7
	s_branch .LBB9_85
.LBB9_19:
                                        ; implicit-def: $vgpr9
                                        ; implicit-def: $vgpr13
                                        ; implicit-def: $vgpr16_vgpr17
                                        ; implicit-def: $sgpr10_sgpr11
	s_branch .LBB9_98
.LBB9_20:
                                        ; implicit-def: $vgpr28_vgpr29
                                        ; implicit-def: $vgpr30_vgpr31
                                        ; implicit-def: $vgpr14_vgpr15
                                        ; implicit-def: $vgpr34
	s_cbranch_execz .LBB9_53
; %bb.21:
	s_sub_co_i32 s8, s18, s24
	s_mov_b32 s2, exec_lo
                                        ; implicit-def: $vgpr34
                                        ; implicit-def: $vgpr30_vgpr31
                                        ; implicit-def: $vgpr28_vgpr29
                                        ; implicit-def: $vgpr14
	v_cmpx_gt_u32_e64 s8, v0
	s_cbranch_execz .LBB9_23
; %bb.22:
	s_clause 0x1
	global_load_b128 v[2:5], v[32:33], off
	global_load_b96 v[14:16], v[32:33], off offset:16
	s_wait_loadcnt 0x1
	v_dual_mov_b32 v28, v3 :: v_dual_mov_b32 v29, v4
	v_dual_mov_b32 v30, v5 :: v_dual_mov_b32 v31, v2
	s_wait_loadcnt 0x0
	v_mov_b32_e32 v34, v16
.LBB9_23:
	s_or_b32 exec_lo, exec_lo, s2
	v_or_b32_e32 v1, 0x100, v0
                                        ; implicit-def: $vgpr26
                                        ; implicit-def: $vgpr13
	s_delay_alu instid0(VALU_DEP_1)
	v_cmp_gt_u32_e32 vcc_lo, s8, v1
	s_and_saveexec_b32 s2, vcc_lo
	s_cbranch_execz .LBB9_25
; %bb.24:
	s_clause 0x1
	global_load_b128 v[10:13], v[32:33], off offset:7168
	global_load_b96 v[24:26], v[32:33], off offset:7184
.LBB9_25:
	s_wait_xcnt 0x0
	s_or_b32 exec_lo, exec_lo, s2
	v_or_b32_e32 v1, 0x200, v0
                                        ; implicit-def: $vgpr22
                                        ; implicit-def: $vgpr9
	s_delay_alu instid0(VALU_DEP_1)
	v_cmp_gt_u32_e64 s3, s8, v1
	s_and_saveexec_b32 s2, s3
	s_cbranch_execz .LBB9_27
; %bb.26:
	s_clause 0x1
	global_load_b128 v[6:9], v[32:33], off offset:14336
	global_load_b96 v[20:22], v[32:33], off offset:14352
.LBB9_27:
	s_wait_xcnt 0x0
	s_or_b32 exec_lo, exec_lo, s2
	v_or_b32_e32 v1, 0x300, v0
                                        ; implicit-def: $vgpr18
                                        ; implicit-def: $vgpr5
	s_delay_alu instid0(VALU_DEP_1)
	v_cmp_gt_u32_e64 s2, s8, v1
	s_and_saveexec_b32 s4, s2
	s_cbranch_execnz .LBB9_130
; %bb.28:
	s_or_b32 exec_lo, exec_lo, s4
	s_and_saveexec_b32 s23, vcc_lo
	s_cbranch_execnz .LBB9_131
.LBB9_29:
	s_or_b32 exec_lo, exec_lo, s23
	s_and_saveexec_b32 s7, s3
	s_cbranch_execnz .LBB9_132
.LBB9_30:
	s_or_b32 exec_lo, exec_lo, s7
	s_and_saveexec_b32 s6, s2
	s_cbranch_execz .LBB9_32
.LBB9_31:
	s_wait_loadcnt 0x1
	v_dual_mov_b32 v6, v31 :: v_dual_mov_b32 v7, v2
	v_cmp_lt_f32_e32 vcc_lo, v3, v28
	v_sub_f32_e32 v8, v5, v30
	s_wait_loadcnt 0x0
	v_dual_mul_f32 v22, v2, v2 :: v_dual_mov_b32 v23, v2
	v_pk_mul_f32 v[10:11], v[6:7], v[30:31] op_sel:[0,1]
	v_dual_cndmask_b32 v28, v28, v3 :: v_dual_sub_f32 v1, v31, v2
	v_mul_f32_e32 v9, v8, v8
	s_delay_alu instid0(VALU_DEP_3) | instskip(NEXT) | instid1(VALU_DEP_2)
	v_dual_mov_b32 v20, v16 :: v_dual_mov_b32 v12, v11
	v_dual_mov_b32 v21, v2 :: v_dual_mul_f32 v3, v8, v9
	s_delay_alu instid0(VALU_DEP_2) | instskip(SKIP_1) | instid1(VALU_DEP_3)
	v_pk_fma_f32 v[6:7], v[6:7], v[30:31], v[12:13] op_sel:[0,1,0] neg_lo:[0,0,1] neg_hi:[0,0,1]
	v_dual_mov_b32 v7, v31 :: v_dual_mov_b32 v12, v31
	v_dual_mul_f32 v5, v31, v3 :: v_dual_mul_f32 v3, v8, v3
	v_mov_b32_e32 v13, v14
	s_delay_alu instid0(VALU_DEP_3) | instskip(NEXT) | instid1(VALU_DEP_3)
	v_pk_add_f32 v[6:7], v[22:23], v[6:7]
	v_dual_mul_f32 v32, v2, v8 :: v_dual_mul_f32 v5, v2, v5
	s_delay_alu instid0(VALU_DEP_4) | instskip(NEXT) | instid1(VALU_DEP_3)
	v_mul_f32_e32 v24, v31, v3
	v_dual_mul_f32 v26, v16, v31 :: v_dual_mov_b32 v3, v7
	v_mov_b32_e32 v25, v7
	s_delay_alu instid0(VALU_DEP_4) | instskip(SKIP_1) | instid1(VALU_DEP_3)
	v_div_scale_f32 v27, null, v7, v7, v32
	v_mul_f32_e32 v1, v1, v5
	v_pk_mul_f32 v[24:25], v[2:3], v[24:25]
	s_delay_alu instid0(VALU_DEP_3) | instskip(SKIP_4) | instid1(TRANS32_DEP_1)
	v_rcp_f32_e32 v5, v27
	v_pk_fma_f32 v[12:13], v[20:21], v[12:13], v[26:27] op_sel_hi:[1,1,0] neg_lo:[1,0,0] neg_hi:[1,0,0]
	v_pk_add_f32 v[20:21], v[16:17], v[14:15]
	v_div_scale_f32 v26, vcc_lo, v32, v7, v32
	v_div_scale_f32 v33, null, v25, v25, v1
	v_fma_f32 v11, -v27, v5, 1.0
	v_add_f32_e32 v34, v18, v34
	v_div_scale_f32 v35, s2, v1, v25, v1
	s_delay_alu instid0(VALU_DEP_4) | instskip(NEXT) | instid1(VALU_DEP_3)
	v_rcp_f32_e32 v20, v33
	v_fmac_f32_e32 v5, v11, v5
	v_dual_mul_f32 v3, 0x40400000, v8 :: v_dual_mul_f32 v12, v9, v31
	v_pk_mul_f32 v[18:19], v[22:23], v[14:15]
	s_delay_alu instid0(TRANS32_DEP_1) | instskip(NEXT) | instid1(VALU_DEP_4)
	v_fma_f32 v11, -v33, v20, 1.0
	v_mul_f32_e32 v37, v26, v5
	s_delay_alu instid0(VALU_DEP_4) | instskip(SKIP_1) | instid1(VALU_DEP_4)
	v_pk_mul_f32 v[2:3], v[2:3], v[12:13]
	v_mov_b64_e32 v[12:13], 0x40c0000040800000
	v_fmac_f32_e32 v20, v11, v20
	s_delay_alu instid0(VALU_DEP_3) | instskip(NEXT) | instid1(VALU_DEP_4)
	v_div_scale_f32 v36, null, v7, v7, v3
	v_div_scale_f32 v39, null, v7, v7, v2
	s_delay_alu instid0(VALU_DEP_3) | instskip(SKIP_1) | instid1(VALU_DEP_4)
	v_mul_f32_e32 v38, v35, v20
	v_fma_f32 v22, -v27, v37, v26
	v_rcp_f32_e32 v15, v36
	v_pk_mul_f32 v[8:9], v[8:9], v[12:13]
	s_delay_alu instid0(VALU_DEP_2) | instskip(SKIP_3) | instid1(VALU_DEP_3)
	v_dual_fma_f32 v40, -v33, v38, v35 :: v_dual_fmac_f32 v37, v22, v5
	v_mov_b32_e32 v11, v31
	v_pk_mul_f32 v[22:23], v[6:7], v[24:25]
	v_rcp_f32_e32 v6, v39
	v_fmac_f32_e32 v38, v40, v20
	v_fma_f32 v41, -v27, v37, v26
	v_pk_fma_f32 v[10:11], v[16:17], v[10:11], v[18:19]
	v_pk_fma_f32 v[26:27], v[16:17], v[30:31], v[18:19] neg_lo:[0,0,1] neg_hi:[0,0,1]
	v_fma_f32 v24, -v36, v15, 1.0
	v_fma_f32 v11, -v33, v38, v35
	v_div_fmas_f32 v5, v41, v5, v37
	s_mov_b32 vcc_lo, s2
	v_dual_mov_b32 v12, v27 :: v_dual_mov_b32 v13, v10
	s_delay_alu instid0(VALU_DEP_3) | instskip(SKIP_2) | instid1(VALU_DEP_3)
	v_div_fmas_f32 v10, v11, v20, v38
	v_div_scale_f32 v18, null, v23, v23, v22
	v_div_scale_f32 v17, vcc_lo, v3, v7, v3
	v_div_fixup_f32 v11, v10, v25, v1
	v_fma_f32 v1, -v39, v6, 1.0
	v_fmac_f32_e32 v15, v24, v15
	v_pk_mul_f32 v[8:9], v[8:9], v[12:13]
	v_div_fixup_f32 v5, v5, v7, v32
	s_delay_alu instid0(VALU_DEP_4) | instskip(SKIP_1) | instid1(VALU_DEP_3)
	v_fmac_f32_e32 v6, v1, v6
	v_rcp_f32_e32 v1, v18
	v_div_scale_f32 v13, null, v25, v25, v9
	v_dual_mov_b32 v20, v16 :: v_dual_mul_f32 v12, v17, v15
	v_div_scale_f32 v16, s2, v2, v7, v2
	s_delay_alu instid0(TRANS32_DEP_1) | instskip(NEXT) | instid1(VALU_DEP_4)
	v_fma_f32 v19, -v18, v1, 1.0
	v_rcp_f32_e32 v24, v13
	v_div_scale_f32 v27, null, v7, v7, v8
	v_dual_mov_b32 v10, v14 :: v_dual_fma_f32 v14, -v36, v12, v17
	s_delay_alu instid0(VALU_DEP_3) | instskip(SKIP_1) | instid1(VALU_DEP_4)
	v_dual_mul_f32 v26, v16, v6 :: v_dual_fmac_f32 v1, v19, v1
	v_div_scale_f32 v19, s3, v22, v23, v22
	v_rcp_f32_e32 v32, v27
	s_delay_alu instid0(TRANS32_DEP_2) | instskip(NEXT) | instid1(VALU_DEP_2)
	v_fma_f32 v31, -v13, v24, 1.0
	v_dual_fmac_f32 v12, v14, v15 :: v_dual_mul_f32 v33, v19, v1
	v_fma_f32 v14, -v39, v26, v16
	v_pk_add_f32 v[10:11], v[20:21], v[10:11]
	s_delay_alu instid0(TRANS32_DEP_1) | instskip(NEXT) | instid1(VALU_DEP_4)
	v_fma_f32 v35, -v27, v32, 1.0
	v_fma_f32 v17, -v36, v12, v17
	s_delay_alu instid0(VALU_DEP_4) | instskip(SKIP_2) | instid1(VALU_DEP_4)
	v_dual_fmac_f32 v24, v31, v24 :: v_dual_fmac_f32 v26, v14, v6
	v_div_scale_f32 v31, s4, v9, v25, v9
	v_fma_f32 v14, -v18, v33, v19
	v_div_fmas_f32 v12, v17, v15, v12
	s_mov_b32 vcc_lo, s2
	s_delay_alu instid0(VALU_DEP_3) | instskip(NEXT) | instid1(VALU_DEP_3)
	v_mul_f32_e32 v36, v31, v24
	v_dual_fmac_f32 v32, v35, v32 :: v_dual_fmac_f32 v33, v14, v1
	v_div_scale_f32 v35, s5, v8, v7, v8
	s_delay_alu instid0(VALU_DEP_3) | instskip(SKIP_1) | instid1(VALU_DEP_3)
	v_dual_fma_f32 v15, -v39, v26, v16 :: v_dual_fma_f32 v14, -v13, v36, v31
	v_div_fixup_f32 v3, v12, v7, v3
	v_mul_f32_e32 v16, v35, v32
	s_delay_alu instid0(VALU_DEP_3) | instskip(SKIP_2) | instid1(VALU_DEP_3)
	v_div_fmas_f32 v6, v15, v6, v26
	v_fma_f32 v15, -v18, v33, v19
	s_mov_b32 vcc_lo, s3
	v_fma_f32 v17, -v27, v16, v35
	s_delay_alu instid0(VALU_DEP_3) | instskip(NEXT) | instid1(VALU_DEP_3)
	v_div_fixup_f32 v2, v6, v7, v2
	v_div_fmas_f32 v1, v15, v1, v33
	s_mov_b32 vcc_lo, s4
	v_add_f32_e32 v6, v30, v5
	s_delay_alu instid0(VALU_DEP_2) | instskip(NEXT) | instid1(VALU_DEP_1)
	v_div_fixup_f32 v1, v1, v23, v22
	v_dual_fmac_f32 v16, v17, v32 :: v_dual_add_f32 v1, v34, v1
	v_fmac_f32_e32 v36, v14, v24
	v_pk_add_f32 v[14:15], v[2:3], v[10:11]
	s_delay_alu instid0(VALU_DEP_2) | instskip(NEXT) | instid1(VALU_DEP_4)
	v_fma_f32 v12, -v13, v36, v31
	v_fma_f32 v13, -v27, v16, v35
	v_mov_b64_e32 v[30:31], v[6:7]
	s_delay_alu instid0(VALU_DEP_3) | instskip(SKIP_1) | instid1(VALU_DEP_3)
	v_div_fmas_f32 v12, v12, v24, v36
	s_mov_b32 vcc_lo, s5
	v_div_fmas_f32 v13, v13, v32, v16
	v_cmp_lt_f32_e32 vcc_lo, v29, v4
	s_delay_alu instid0(VALU_DEP_3) | instskip(NEXT) | instid1(VALU_DEP_3)
	v_div_fixup_f32 v9, v12, v25, v9
	v_div_fixup_f32 v5, v13, v7, v8
	v_cndmask_b32_e32 v29, v29, v4, vcc_lo
	s_delay_alu instid0(VALU_DEP_3) | instskip(NEXT) | instid1(VALU_DEP_1)
	v_add_f32_e32 v1, v9, v1
	v_add_f32_e32 v34, v5, v1
.LBB9_32:
	s_or_b32 exec_lo, exec_lo, s6
	v_mbcnt_lo_u32_b32 v1, -1, 0
	s_wait_loadcnt 0x1
	v_and_b32_e32 v3, 0xe0, v0
	s_min_u32 s7, s8, 0x100
	v_dual_mov_b32 v7, v15 :: v_dual_mov_b32 v6, v14
	v_cmp_ne_u32_e32 vcc_lo, 31, v1
	s_delay_alu instid0(VALU_DEP_3) | instskip(SKIP_2) | instid1(VALU_DEP_2)
	v_sub_nc_u32_e64 v10, s7, v3 clamp
	v_add_nc_u32_e32 v3, 1, v1
	v_add_co_ci_u32_e64 v2, null, 0, v1, vcc_lo
	v_cmp_lt_u32_e32 vcc_lo, v3, v10
	s_delay_alu instid0(VALU_DEP_2)
	v_dual_mov_b32 v3, v31 :: v_dual_lshlrev_b32 v2, 2, v2
	ds_bpermute_b32 v9, v2, v31
	ds_bpermute_b32 v11, v2, v28
	;; [unrolled: 1-line block ×7, first 2 shown]
	s_and_saveexec_b32 s2, vcc_lo
	s_delay_alu instid0(SALU_CYCLE_1)
	s_xor_b32 s8, exec_lo, s2
	s_cbranch_execz .LBB9_34
; %bb.33:
	v_dual_mov_b32 v6, v31 :: v_dual_mov_b32 v7, v14
	s_wait_loadcnt_dscnt 0x2
	v_dual_mov_b32 v8, v5 :: v_dual_mul_f32 v16, v31, v5
	s_wait_dscnt 0x0
	v_dual_add_f32 v38, v34, v2 :: v_dual_mul_f32 v22, v9, v9
	v_sub_f32_e32 v27, v31, v9
	v_dual_mov_b32 v21, 0x40400000 :: v_dual_mov_b32 v20, v31
	v_pk_fma_f32 v[6:7], v[6:7], v[8:9], v[16:17] op_sel_hi:[1,1,0] neg_lo:[1,0,0] neg_hi:[1,0,0]
	v_dual_mov_b32 v8, v31 :: v_dual_sub_f32 v17, v13, v30
	v_dual_mov_b32 v13, v4 :: v_dual_mov_b32 v24, v9
	s_delay_alu instid0(VALU_DEP_2) | instskip(NEXT) | instid1(VALU_DEP_3)
	v_pk_mul_f32 v[18:19], v[30:31], v[8:9] op_sel:[1,0]
	v_dual_mul_f32 v16, v17, v17 :: v_dual_mov_b32 v23, v31
	v_mul_f32_e32 v39, v17, v9
	s_delay_alu instid0(VALU_DEP_4) | instskip(NEXT) | instid1(VALU_DEP_3)
	v_pk_add_f32 v[32:33], v[14:15], v[12:13]
	v_dual_mov_b32 v6, v19 :: v_dual_mul_f32 v19, v17, v16
	v_mov_b32_e32 v26, v31
	v_pk_mul_f32 v[20:21], v[20:21], v[16:17]
	v_mov_b32_e32 v37, v16
	s_delay_alu instid0(VALU_DEP_4) | instskip(SKIP_2) | instid1(VALU_DEP_2)
	v_pk_fma_f32 v[2:3], v[30:31], v[8:9], v[6:7] op_sel:[1,0,0] neg_lo:[0,0,1] neg_hi:[0,0,1]
	v_dual_mov_b32 v3, v9 :: v_dual_mul_f32 v6, v31, v19
	v_dual_mul_f32 v8, v17, v19 :: v_dual_mov_b32 v32, v14
	v_pk_add_f32 v[2:3], v[22:23], v[2:3]
	s_delay_alu instid0(VALU_DEP_2) | instskip(SKIP_1) | instid1(VALU_DEP_3)
	v_dual_mul_f32 v6, v6, v9 :: v_dual_mul_f32 v34, v31, v8
	v_dual_mov_b32 v36, v17 :: v_dual_mov_b32 v23, v9
	v_dual_mov_b32 v35, v3 :: v_dual_mov_b32 v25, v3
	v_div_scale_f32 v13, null, v3, v3, v39
	s_delay_alu instid0(VALU_DEP_4) | instskip(NEXT) | instid1(VALU_DEP_3)
	v_dual_mul_f32 v31, v27, v6 :: v_dual_mov_b32 v6, v9
	v_pk_mul_f32 v[24:25], v[34:35], v[24:25]
	s_delay_alu instid0(VALU_DEP_3) | instskip(SKIP_1) | instid1(VALU_DEP_3)
	v_rcp_f32_e32 v19, v13
	v_div_scale_f32 v16, vcc_lo, v39, v3, v39
	v_pk_mul_f32 v[6:7], v[20:21], v[6:7]
	s_delay_alu instid0(VALU_DEP_3) | instskip(SKIP_1) | instid1(TRANS32_DEP_1)
	v_div_scale_f32 v34, null, v25, v25, v31
	v_mov_b32_e32 v27, v18
	v_fma_f32 v8, -v13, v19, 1.0
	s_delay_alu instid0(VALU_DEP_4) | instskip(NEXT) | instid1(VALU_DEP_4)
	v_div_scale_f32 v21, null, v3, v3, v7
	v_rcp_f32_e32 v20, v34
	v_div_scale_f32 v35, null, v3, v3, v6
	s_delay_alu instid0(VALU_DEP_3) | instskip(SKIP_2) | instid1(TRANS32_DEP_2)
	v_fmac_f32_e32 v19, v8, v19
	v_div_scale_f32 v18, s2, v31, v25, v31
	v_rcp_f32_e32 v41, v21
	v_fma_f32 v8, -v34, v20, 1.0
	v_rcp_f32_e32 v42, v35
	v_div_scale_f32 v44, s3, v7, v3, v7
	s_delay_alu instid0(VALU_DEP_2) | instskip(SKIP_1) | instid1(TRANS32_DEP_2)
	v_fmac_f32_e32 v20, v8, v20
	v_mul_f32_e32 v40, v16, v19
	v_fma_f32 v17, -v21, v41, 1.0
	s_delay_alu instid0(VALU_DEP_3) | instskip(NEXT) | instid1(VALU_DEP_1)
	v_mul_f32_e32 v43, v18, v20
	v_dual_fma_f32 v8, -v13, v40, v16 :: v_dual_fma_f32 v45, -v34, v43, v18
	s_delay_alu instid0(VALU_DEP_1) | instskip(SKIP_3) | instid1(VALU_DEP_2)
	v_fmac_f32_e32 v40, v8, v19
	v_pk_mul_f32 v[8:9], v[14:15], v[22:23]
	v_fma_f32 v22, -v35, v42, 1.0
	v_mov_b64_e32 v[14:15], 0x40c0000040800000
	v_dual_fmac_f32 v43, v45, v20 :: v_dual_fmac_f32 v42, v22, v42
	v_fmac_f32_e32 v41, v17, v41
	v_fma_f32 v13, -v13, v40, v16
	v_pk_fma_f32 v[16:17], v[26:27], v[4:5], v[8:9] op_sel:[0,0,1] op_sel_hi:[1,1,0]
	v_pk_fma_f32 v[8:9], v[26:27], v[4:5], v[8:9] op_sel:[0,0,1] op_sel_hi:[1,1,0] neg_lo:[0,0,1] neg_hi:[0,0,1]
	v_fma_f32 v16, -v34, v43, v18
	v_pk_mul_f32 v[14:15], v[36:37], v[14:15]
	v_div_fmas_f32 v13, v13, v19, v40
	v_pk_mul_f32 v[18:19], v[2:3], v[24:25]
	v_dual_mov_b32 v9, v17 :: v_dual_mul_f32 v2, v44, v41
	s_mov_b32 vcc_lo, s2
	s_delay_alu instid0(VALU_DEP_2) | instskip(NEXT) | instid1(VALU_DEP_2)
	v_div_scale_f32 v4, null, v19, v19, v18
	v_pk_mul_f32 v[8:9], v[14:15], v[8:9]
	v_div_scale_f32 v14, s4, v6, v3, v6
	s_delay_alu instid0(VALU_DEP_3) | instskip(SKIP_1) | instid1(VALU_DEP_3)
	v_rcp_f32_e32 v15, v4
	v_div_fmas_f32 v16, v16, v20, v43
	v_div_scale_f32 v17, null, v3, v3, v8
	v_div_scale_f32 v26, null, v25, v25, v9
	v_mul_f32_e32 v24, v14, v42
	s_delay_alu instid0(VALU_DEP_3) | instskip(NEXT) | instid1(TRANS32_DEP_2)
	v_rcp_f32_e32 v23, v17
	v_fma_f32 v22, -v4, v15, 1.0
	v_fma_f32 v20, -v21, v2, v44
	v_rcp_f32_e32 v34, v26
	s_mov_b32 vcc_lo, s3
	s_delay_alu instid0(VALU_DEP_2) | instskip(SKIP_3) | instid1(TRANS32_DEP_1)
	v_fmac_f32_e32 v15, v22, v15
	v_div_scale_f32 v22, s2, v18, v19, v18
	v_fma_f32 v27, -v17, v23, 1.0
	v_fmac_f32_e32 v2, v20, v41
	v_fma_f32 v37, -v26, v34, 1.0
	s_delay_alu instid0(VALU_DEP_4) | instskip(NEXT) | instid1(VALU_DEP_3)
	v_dual_mul_f32 v36, v22, v15 :: v_dual_fma_f32 v20, -v35, v24, v14
	v_dual_fma_f32 v21, -v21, v2, v44 :: v_dual_fmac_f32 v23, v27, v23
	v_div_scale_f32 v27, s5, v8, v3, v8
	s_delay_alu instid0(VALU_DEP_3) | instskip(NEXT) | instid1(VALU_DEP_4)
	v_fmac_f32_e32 v24, v20, v42
	v_fma_f32 v20, -v4, v36, v22
	s_delay_alu instid0(VALU_DEP_4) | instskip(NEXT) | instid1(VALU_DEP_4)
	v_div_fmas_f32 v2, v21, v41, v2
	v_dual_mul_f32 v40, v27, v23 :: v_dual_fmac_f32 v34, v37, v34
	v_div_scale_f32 v37, s6, v9, v25, v9
	s_delay_alu instid0(VALU_DEP_4) | instskip(SKIP_1) | instid1(VALU_DEP_2)
	v_dual_fmac_f32 v36, v20, v15 :: v_dual_fma_f32 v14, -v35, v24, v14
	s_mov_b32 vcc_lo, s4
	v_mul_f32_e32 v21, v37, v34
	v_fma_f32 v20, -v17, v40, v27
	v_div_fixup_f32 v7, v2, v3, v7
	v_div_fmas_f32 v24, v14, v42, v24
	s_mov_b32 vcc_lo, s2
	v_dual_fma_f32 v14, -v26, v21, v37 :: v_dual_fma_f32 v4, -v4, v36, v22
	v_fmac_f32_e32 v40, v20, v23
	s_delay_alu instid0(VALU_DEP_3) | instskip(NEXT) | instid1(VALU_DEP_3)
	v_div_fixup_f32 v6, v24, v3, v6
	v_fmac_f32_e32 v21, v14, v34
	s_delay_alu instid0(VALU_DEP_4)
	v_div_fmas_f32 v4, v4, v15, v36
	v_mov_b32_e32 v14, v5
	v_fma_f32 v5, -v17, v40, v27
	v_div_fixup_f32 v15, v16, v25, v31
	s_mov_b32 vcc_lo, s5
	v_div_fixup_f32 v16, v4, v19, v18
	v_fma_f32 v4, -v26, v21, v37
	v_div_fmas_f32 v17, v5, v23, v40
	s_mov_b32 vcc_lo, s6
	v_mov_b32_e32 v31, v3
	s_delay_alu instid0(VALU_DEP_3) | instskip(SKIP_3) | instid1(VALU_DEP_4)
	v_div_fmas_f32 v18, v4, v34, v21
	v_cmp_lt_f32_e32 vcc_lo, v29, v12
	v_pk_add_f32 v[4:5], v[32:33], v[14:15]
	v_div_fixup_f32 v8, v17, v3, v8
	v_div_fixup_f32 v9, v18, v25, v9
	v_cndmask_b32_e32 v29, v29, v12, vcc_lo
	v_cmp_lt_f32_e32 vcc_lo, v11, v28
	v_add_f32_e32 v2, v38, v16
	v_pk_add_f32 v[6:7], v[6:7], v[4:5]
	v_div_fixup_f32 v12, v13, v3, v39
	s_delay_alu instid0(VALU_DEP_3) | instskip(NEXT) | instid1(VALU_DEP_3)
	v_dual_cndmask_b32 v28, v28, v11, vcc_lo :: v_dual_add_f32 v2, v9, v2
	v_mov_b64_e32 v[14:15], v[6:7]
	s_delay_alu instid0(VALU_DEP_2)
	v_dual_add_f32 v30, v30, v12 :: v_dual_add_f32 v34, v8, v2
.LBB9_34:
	s_or_b32 exec_lo, exec_lo, s8
	v_cmp_gt_u32_e32 vcc_lo, 30, v1
	v_add_nc_u32_e32 v8, 2, v1
	s_mov_b32 s8, exec_lo
	s_wait_dscnt 0x0
	v_cndmask_b32_e64 v2, 0, 2, vcc_lo
	s_delay_alu instid0(VALU_DEP_1)
	v_add_lshl_u32 v2, v2, v1, 2
	ds_bpermute_b32 v9, v2, v3
	ds_bpermute_b32 v11, v2, v28
	;; [unrolled: 1-line block ×7, first 2 shown]
	v_cmpx_lt_u32_e64 v8, v10
	s_cbranch_execz .LBB9_36
; %bb.35:
	v_dual_mov_b32 v6, v31 :: v_dual_mov_b32 v7, v14
	s_wait_loadcnt_dscnt 0x2
	v_dual_mov_b32 v8, v5 :: v_dual_mul_f32 v16, v31, v5
	s_wait_dscnt 0x0
	v_dual_add_f32 v38, v34, v2 :: v_dual_mul_f32 v22, v9, v9
	v_sub_f32_e32 v27, v31, v9
	v_dual_mov_b32 v21, 0x40400000 :: v_dual_mov_b32 v20, v31
	v_pk_fma_f32 v[6:7], v[6:7], v[8:9], v[16:17] op_sel_hi:[1,1,0] neg_lo:[1,0,0] neg_hi:[1,0,0]
	v_dual_mov_b32 v8, v31 :: v_dual_sub_f32 v17, v13, v30
	v_dual_mov_b32 v13, v4 :: v_dual_mov_b32 v24, v9
	s_delay_alu instid0(VALU_DEP_2) | instskip(NEXT) | instid1(VALU_DEP_3)
	v_pk_mul_f32 v[18:19], v[30:31], v[8:9] op_sel:[1,0]
	v_dual_mul_f32 v16, v17, v17 :: v_dual_mov_b32 v23, v31
	v_mul_f32_e32 v39, v17, v9
	s_delay_alu instid0(VALU_DEP_4) | instskip(NEXT) | instid1(VALU_DEP_3)
	v_pk_add_f32 v[32:33], v[14:15], v[12:13]
	v_dual_mov_b32 v6, v19 :: v_dual_mul_f32 v19, v17, v16
	v_mov_b32_e32 v26, v31
	v_pk_mul_f32 v[20:21], v[20:21], v[16:17]
	v_mov_b32_e32 v37, v16
	s_delay_alu instid0(VALU_DEP_4) | instskip(SKIP_2) | instid1(VALU_DEP_2)
	v_pk_fma_f32 v[2:3], v[30:31], v[8:9], v[6:7] op_sel:[1,0,0] neg_lo:[0,0,1] neg_hi:[0,0,1]
	v_dual_mov_b32 v3, v9 :: v_dual_mul_f32 v6, v31, v19
	v_dual_mul_f32 v8, v17, v19 :: v_dual_mov_b32 v32, v14
	v_pk_add_f32 v[2:3], v[22:23], v[2:3]
	s_delay_alu instid0(VALU_DEP_2) | instskip(SKIP_1) | instid1(VALU_DEP_3)
	v_dual_mul_f32 v6, v6, v9 :: v_dual_mul_f32 v34, v31, v8
	v_dual_mov_b32 v36, v17 :: v_dual_mov_b32 v23, v9
	v_dual_mov_b32 v35, v3 :: v_dual_mov_b32 v25, v3
	v_div_scale_f32 v13, null, v3, v3, v39
	s_delay_alu instid0(VALU_DEP_4) | instskip(NEXT) | instid1(VALU_DEP_3)
	v_dual_mul_f32 v31, v27, v6 :: v_dual_mov_b32 v6, v9
	v_pk_mul_f32 v[24:25], v[34:35], v[24:25]
	s_delay_alu instid0(VALU_DEP_3) | instskip(SKIP_1) | instid1(VALU_DEP_3)
	v_rcp_f32_e32 v19, v13
	v_div_scale_f32 v16, vcc_lo, v39, v3, v39
	v_pk_mul_f32 v[6:7], v[20:21], v[6:7]
	s_delay_alu instid0(VALU_DEP_3) | instskip(SKIP_1) | instid1(TRANS32_DEP_1)
	v_div_scale_f32 v34, null, v25, v25, v31
	v_mov_b32_e32 v27, v18
	v_fma_f32 v8, -v13, v19, 1.0
	s_delay_alu instid0(VALU_DEP_4) | instskip(NEXT) | instid1(VALU_DEP_4)
	v_div_scale_f32 v21, null, v3, v3, v7
	v_rcp_f32_e32 v20, v34
	v_div_scale_f32 v35, null, v3, v3, v6
	s_delay_alu instid0(VALU_DEP_3) | instskip(SKIP_2) | instid1(TRANS32_DEP_2)
	v_fmac_f32_e32 v19, v8, v19
	v_div_scale_f32 v18, s2, v31, v25, v31
	v_rcp_f32_e32 v41, v21
	v_fma_f32 v8, -v34, v20, 1.0
	v_rcp_f32_e32 v42, v35
	v_div_scale_f32 v44, s3, v7, v3, v7
	s_delay_alu instid0(VALU_DEP_2) | instskip(SKIP_1) | instid1(TRANS32_DEP_2)
	v_fmac_f32_e32 v20, v8, v20
	v_mul_f32_e32 v40, v16, v19
	v_fma_f32 v17, -v21, v41, 1.0
	s_delay_alu instid0(VALU_DEP_3) | instskip(NEXT) | instid1(VALU_DEP_1)
	v_mul_f32_e32 v43, v18, v20
	v_dual_fma_f32 v8, -v13, v40, v16 :: v_dual_fma_f32 v45, -v34, v43, v18
	s_delay_alu instid0(VALU_DEP_1) | instskip(SKIP_3) | instid1(VALU_DEP_2)
	v_fmac_f32_e32 v40, v8, v19
	v_pk_mul_f32 v[8:9], v[14:15], v[22:23]
	v_fma_f32 v22, -v35, v42, 1.0
	v_mov_b64_e32 v[14:15], 0x40c0000040800000
	v_dual_fmac_f32 v43, v45, v20 :: v_dual_fmac_f32 v42, v22, v42
	v_fmac_f32_e32 v41, v17, v41
	v_fma_f32 v13, -v13, v40, v16
	v_pk_fma_f32 v[16:17], v[26:27], v[4:5], v[8:9] op_sel:[0,0,1] op_sel_hi:[1,1,0]
	v_pk_fma_f32 v[8:9], v[26:27], v[4:5], v[8:9] op_sel:[0,0,1] op_sel_hi:[1,1,0] neg_lo:[0,0,1] neg_hi:[0,0,1]
	v_fma_f32 v16, -v34, v43, v18
	v_pk_mul_f32 v[14:15], v[36:37], v[14:15]
	v_div_fmas_f32 v13, v13, v19, v40
	v_pk_mul_f32 v[18:19], v[2:3], v[24:25]
	v_dual_mov_b32 v9, v17 :: v_dual_mul_f32 v2, v44, v41
	s_mov_b32 vcc_lo, s2
	s_delay_alu instid0(VALU_DEP_2) | instskip(NEXT) | instid1(VALU_DEP_2)
	v_div_scale_f32 v4, null, v19, v19, v18
	v_pk_mul_f32 v[8:9], v[14:15], v[8:9]
	v_div_scale_f32 v14, s4, v6, v3, v6
	s_delay_alu instid0(VALU_DEP_3) | instskip(SKIP_1) | instid1(VALU_DEP_3)
	v_rcp_f32_e32 v15, v4
	v_div_fmas_f32 v16, v16, v20, v43
	v_div_scale_f32 v17, null, v3, v3, v8
	v_div_scale_f32 v26, null, v25, v25, v9
	v_mul_f32_e32 v24, v14, v42
	s_delay_alu instid0(VALU_DEP_3) | instskip(NEXT) | instid1(TRANS32_DEP_2)
	v_rcp_f32_e32 v23, v17
	v_fma_f32 v22, -v4, v15, 1.0
	v_fma_f32 v20, -v21, v2, v44
	v_rcp_f32_e32 v34, v26
	s_mov_b32 vcc_lo, s3
	s_delay_alu instid0(VALU_DEP_2) | instskip(SKIP_3) | instid1(TRANS32_DEP_1)
	v_fmac_f32_e32 v15, v22, v15
	v_div_scale_f32 v22, s2, v18, v19, v18
	v_fma_f32 v27, -v17, v23, 1.0
	v_fmac_f32_e32 v2, v20, v41
	v_fma_f32 v37, -v26, v34, 1.0
	s_delay_alu instid0(VALU_DEP_4) | instskip(NEXT) | instid1(VALU_DEP_3)
	v_dual_mul_f32 v36, v22, v15 :: v_dual_fma_f32 v20, -v35, v24, v14
	v_dual_fma_f32 v21, -v21, v2, v44 :: v_dual_fmac_f32 v23, v27, v23
	v_div_scale_f32 v27, s5, v8, v3, v8
	s_delay_alu instid0(VALU_DEP_3) | instskip(NEXT) | instid1(VALU_DEP_4)
	v_fmac_f32_e32 v24, v20, v42
	v_fma_f32 v20, -v4, v36, v22
	s_delay_alu instid0(VALU_DEP_4) | instskip(NEXT) | instid1(VALU_DEP_4)
	v_div_fmas_f32 v2, v21, v41, v2
	v_dual_mul_f32 v40, v27, v23 :: v_dual_fmac_f32 v34, v37, v34
	v_div_scale_f32 v37, s6, v9, v25, v9
	s_delay_alu instid0(VALU_DEP_4) | instskip(SKIP_1) | instid1(VALU_DEP_2)
	v_dual_fmac_f32 v36, v20, v15 :: v_dual_fma_f32 v14, -v35, v24, v14
	s_mov_b32 vcc_lo, s4
	v_mul_f32_e32 v21, v37, v34
	v_fma_f32 v20, -v17, v40, v27
	v_div_fixup_f32 v7, v2, v3, v7
	v_div_fmas_f32 v24, v14, v42, v24
	s_mov_b32 vcc_lo, s2
	v_dual_fma_f32 v14, -v26, v21, v37 :: v_dual_fma_f32 v4, -v4, v36, v22
	v_fmac_f32_e32 v40, v20, v23
	s_delay_alu instid0(VALU_DEP_3) | instskip(NEXT) | instid1(VALU_DEP_3)
	v_div_fixup_f32 v6, v24, v3, v6
	v_fmac_f32_e32 v21, v14, v34
	s_delay_alu instid0(VALU_DEP_4)
	v_div_fmas_f32 v4, v4, v15, v36
	v_mov_b32_e32 v14, v5
	v_fma_f32 v5, -v17, v40, v27
	v_div_fixup_f32 v15, v16, v25, v31
	s_mov_b32 vcc_lo, s5
	v_div_fixup_f32 v16, v4, v19, v18
	v_fma_f32 v4, -v26, v21, v37
	v_div_fmas_f32 v17, v5, v23, v40
	s_mov_b32 vcc_lo, s6
	v_mov_b32_e32 v31, v3
	s_delay_alu instid0(VALU_DEP_3) | instskip(SKIP_3) | instid1(VALU_DEP_4)
	v_div_fmas_f32 v18, v4, v34, v21
	v_cmp_lt_f32_e32 vcc_lo, v29, v12
	v_pk_add_f32 v[4:5], v[32:33], v[14:15]
	v_div_fixup_f32 v8, v17, v3, v8
	v_div_fixup_f32 v9, v18, v25, v9
	v_cndmask_b32_e32 v29, v29, v12, vcc_lo
	v_cmp_lt_f32_e32 vcc_lo, v11, v28
	v_add_f32_e32 v2, v38, v16
	v_pk_add_f32 v[6:7], v[6:7], v[4:5]
	v_div_fixup_f32 v12, v13, v3, v39
	s_delay_alu instid0(VALU_DEP_3) | instskip(NEXT) | instid1(VALU_DEP_3)
	v_dual_cndmask_b32 v28, v28, v11, vcc_lo :: v_dual_add_f32 v2, v9, v2
	v_mov_b64_e32 v[14:15], v[6:7]
	s_delay_alu instid0(VALU_DEP_2)
	v_dual_add_f32 v30, v30, v12 :: v_dual_add_f32 v34, v8, v2
.LBB9_36:
	s_or_b32 exec_lo, exec_lo, s8
	v_cmp_gt_u32_e32 vcc_lo, 28, v1
	v_add_nc_u32_e32 v8, 4, v1
	s_mov_b32 s8, exec_lo
	s_wait_dscnt 0x0
	v_cndmask_b32_e64 v2, 0, 4, vcc_lo
	s_delay_alu instid0(VALU_DEP_1)
	v_add_lshl_u32 v2, v2, v1, 2
	ds_bpermute_b32 v9, v2, v3
	ds_bpermute_b32 v11, v2, v28
	;; [unrolled: 1-line block ×7, first 2 shown]
	v_cmpx_lt_u32_e64 v8, v10
	s_cbranch_execz .LBB9_38
; %bb.37:
	v_dual_mov_b32 v6, v31 :: v_dual_mov_b32 v7, v14
	s_wait_loadcnt_dscnt 0x2
	v_dual_mov_b32 v8, v5 :: v_dual_mul_f32 v16, v31, v5
	s_wait_dscnt 0x0
	v_dual_add_f32 v38, v34, v2 :: v_dual_mul_f32 v22, v9, v9
	v_sub_f32_e32 v27, v31, v9
	v_dual_mov_b32 v21, 0x40400000 :: v_dual_mov_b32 v20, v31
	v_pk_fma_f32 v[6:7], v[6:7], v[8:9], v[16:17] op_sel_hi:[1,1,0] neg_lo:[1,0,0] neg_hi:[1,0,0]
	v_dual_mov_b32 v8, v31 :: v_dual_sub_f32 v17, v13, v30
	v_dual_mov_b32 v13, v4 :: v_dual_mov_b32 v24, v9
	s_delay_alu instid0(VALU_DEP_2) | instskip(NEXT) | instid1(VALU_DEP_3)
	v_pk_mul_f32 v[18:19], v[30:31], v[8:9] op_sel:[1,0]
	v_dual_mul_f32 v16, v17, v17 :: v_dual_mov_b32 v23, v31
	v_mul_f32_e32 v39, v17, v9
	s_delay_alu instid0(VALU_DEP_4) | instskip(NEXT) | instid1(VALU_DEP_3)
	v_pk_add_f32 v[32:33], v[14:15], v[12:13]
	v_dual_mov_b32 v6, v19 :: v_dual_mul_f32 v19, v17, v16
	v_mov_b32_e32 v26, v31
	v_pk_mul_f32 v[20:21], v[20:21], v[16:17]
	v_mov_b32_e32 v37, v16
	s_delay_alu instid0(VALU_DEP_4) | instskip(SKIP_2) | instid1(VALU_DEP_2)
	v_pk_fma_f32 v[2:3], v[30:31], v[8:9], v[6:7] op_sel:[1,0,0] neg_lo:[0,0,1] neg_hi:[0,0,1]
	v_dual_mov_b32 v3, v9 :: v_dual_mul_f32 v6, v31, v19
	v_dual_mul_f32 v8, v17, v19 :: v_dual_mov_b32 v32, v14
	v_pk_add_f32 v[2:3], v[22:23], v[2:3]
	s_delay_alu instid0(VALU_DEP_2) | instskip(SKIP_1) | instid1(VALU_DEP_3)
	v_dual_mul_f32 v6, v6, v9 :: v_dual_mul_f32 v34, v31, v8
	v_dual_mov_b32 v36, v17 :: v_dual_mov_b32 v23, v9
	v_dual_mov_b32 v35, v3 :: v_dual_mov_b32 v25, v3
	v_div_scale_f32 v13, null, v3, v3, v39
	s_delay_alu instid0(VALU_DEP_4) | instskip(NEXT) | instid1(VALU_DEP_3)
	v_dual_mul_f32 v31, v27, v6 :: v_dual_mov_b32 v6, v9
	v_pk_mul_f32 v[24:25], v[34:35], v[24:25]
	s_delay_alu instid0(VALU_DEP_3) | instskip(SKIP_1) | instid1(VALU_DEP_3)
	v_rcp_f32_e32 v19, v13
	v_div_scale_f32 v16, vcc_lo, v39, v3, v39
	v_pk_mul_f32 v[6:7], v[20:21], v[6:7]
	s_delay_alu instid0(VALU_DEP_3) | instskip(SKIP_1) | instid1(TRANS32_DEP_1)
	v_div_scale_f32 v34, null, v25, v25, v31
	v_mov_b32_e32 v27, v18
	v_fma_f32 v8, -v13, v19, 1.0
	s_delay_alu instid0(VALU_DEP_4) | instskip(NEXT) | instid1(VALU_DEP_4)
	v_div_scale_f32 v21, null, v3, v3, v7
	v_rcp_f32_e32 v20, v34
	v_div_scale_f32 v35, null, v3, v3, v6
	s_delay_alu instid0(VALU_DEP_3) | instskip(SKIP_2) | instid1(TRANS32_DEP_2)
	v_fmac_f32_e32 v19, v8, v19
	v_div_scale_f32 v18, s2, v31, v25, v31
	v_rcp_f32_e32 v41, v21
	v_fma_f32 v8, -v34, v20, 1.0
	v_rcp_f32_e32 v42, v35
	v_div_scale_f32 v44, s3, v7, v3, v7
	s_delay_alu instid0(VALU_DEP_2) | instskip(SKIP_1) | instid1(TRANS32_DEP_2)
	v_fmac_f32_e32 v20, v8, v20
	v_mul_f32_e32 v40, v16, v19
	v_fma_f32 v17, -v21, v41, 1.0
	s_delay_alu instid0(VALU_DEP_3) | instskip(NEXT) | instid1(VALU_DEP_1)
	v_mul_f32_e32 v43, v18, v20
	v_dual_fma_f32 v8, -v13, v40, v16 :: v_dual_fma_f32 v45, -v34, v43, v18
	s_delay_alu instid0(VALU_DEP_1) | instskip(SKIP_3) | instid1(VALU_DEP_2)
	v_fmac_f32_e32 v40, v8, v19
	v_pk_mul_f32 v[8:9], v[14:15], v[22:23]
	v_fma_f32 v22, -v35, v42, 1.0
	v_mov_b64_e32 v[14:15], 0x40c0000040800000
	v_dual_fmac_f32 v43, v45, v20 :: v_dual_fmac_f32 v42, v22, v42
	v_fmac_f32_e32 v41, v17, v41
	v_fma_f32 v13, -v13, v40, v16
	v_pk_fma_f32 v[16:17], v[26:27], v[4:5], v[8:9] op_sel:[0,0,1] op_sel_hi:[1,1,0]
	v_pk_fma_f32 v[8:9], v[26:27], v[4:5], v[8:9] op_sel:[0,0,1] op_sel_hi:[1,1,0] neg_lo:[0,0,1] neg_hi:[0,0,1]
	v_fma_f32 v16, -v34, v43, v18
	v_pk_mul_f32 v[14:15], v[36:37], v[14:15]
	v_div_fmas_f32 v13, v13, v19, v40
	v_pk_mul_f32 v[18:19], v[2:3], v[24:25]
	v_dual_mov_b32 v9, v17 :: v_dual_mul_f32 v2, v44, v41
	s_mov_b32 vcc_lo, s2
	s_delay_alu instid0(VALU_DEP_2) | instskip(NEXT) | instid1(VALU_DEP_2)
	v_div_scale_f32 v4, null, v19, v19, v18
	v_pk_mul_f32 v[8:9], v[14:15], v[8:9]
	v_div_scale_f32 v14, s4, v6, v3, v6
	s_delay_alu instid0(VALU_DEP_3) | instskip(SKIP_1) | instid1(VALU_DEP_3)
	v_rcp_f32_e32 v15, v4
	v_div_fmas_f32 v16, v16, v20, v43
	v_div_scale_f32 v17, null, v3, v3, v8
	v_div_scale_f32 v26, null, v25, v25, v9
	v_mul_f32_e32 v24, v14, v42
	s_delay_alu instid0(VALU_DEP_3) | instskip(NEXT) | instid1(TRANS32_DEP_2)
	v_rcp_f32_e32 v23, v17
	v_fma_f32 v22, -v4, v15, 1.0
	v_fma_f32 v20, -v21, v2, v44
	v_rcp_f32_e32 v34, v26
	s_mov_b32 vcc_lo, s3
	s_delay_alu instid0(VALU_DEP_2) | instskip(SKIP_3) | instid1(TRANS32_DEP_1)
	v_fmac_f32_e32 v15, v22, v15
	v_div_scale_f32 v22, s2, v18, v19, v18
	v_fma_f32 v27, -v17, v23, 1.0
	v_fmac_f32_e32 v2, v20, v41
	v_fma_f32 v37, -v26, v34, 1.0
	s_delay_alu instid0(VALU_DEP_4) | instskip(NEXT) | instid1(VALU_DEP_3)
	v_dual_mul_f32 v36, v22, v15 :: v_dual_fma_f32 v20, -v35, v24, v14
	v_dual_fma_f32 v21, -v21, v2, v44 :: v_dual_fmac_f32 v23, v27, v23
	v_div_scale_f32 v27, s5, v8, v3, v8
	s_delay_alu instid0(VALU_DEP_3) | instskip(NEXT) | instid1(VALU_DEP_4)
	v_fmac_f32_e32 v24, v20, v42
	v_fma_f32 v20, -v4, v36, v22
	s_delay_alu instid0(VALU_DEP_4) | instskip(NEXT) | instid1(VALU_DEP_4)
	v_div_fmas_f32 v2, v21, v41, v2
	v_dual_mul_f32 v40, v27, v23 :: v_dual_fmac_f32 v34, v37, v34
	v_div_scale_f32 v37, s6, v9, v25, v9
	s_delay_alu instid0(VALU_DEP_4) | instskip(SKIP_1) | instid1(VALU_DEP_2)
	v_dual_fmac_f32 v36, v20, v15 :: v_dual_fma_f32 v14, -v35, v24, v14
	s_mov_b32 vcc_lo, s4
	v_mul_f32_e32 v21, v37, v34
	v_fma_f32 v20, -v17, v40, v27
	v_div_fixup_f32 v7, v2, v3, v7
	v_div_fmas_f32 v24, v14, v42, v24
	s_mov_b32 vcc_lo, s2
	v_dual_fma_f32 v14, -v26, v21, v37 :: v_dual_fma_f32 v4, -v4, v36, v22
	v_fmac_f32_e32 v40, v20, v23
	s_delay_alu instid0(VALU_DEP_3) | instskip(NEXT) | instid1(VALU_DEP_3)
	v_div_fixup_f32 v6, v24, v3, v6
	v_fmac_f32_e32 v21, v14, v34
	s_delay_alu instid0(VALU_DEP_4)
	v_div_fmas_f32 v4, v4, v15, v36
	v_mov_b32_e32 v14, v5
	v_fma_f32 v5, -v17, v40, v27
	v_div_fixup_f32 v15, v16, v25, v31
	s_mov_b32 vcc_lo, s5
	v_div_fixup_f32 v16, v4, v19, v18
	v_fma_f32 v4, -v26, v21, v37
	v_div_fmas_f32 v17, v5, v23, v40
	s_mov_b32 vcc_lo, s6
	v_mov_b32_e32 v31, v3
	s_delay_alu instid0(VALU_DEP_3) | instskip(SKIP_3) | instid1(VALU_DEP_4)
	v_div_fmas_f32 v18, v4, v34, v21
	v_cmp_lt_f32_e32 vcc_lo, v29, v12
	v_pk_add_f32 v[4:5], v[32:33], v[14:15]
	v_div_fixup_f32 v8, v17, v3, v8
	v_div_fixup_f32 v9, v18, v25, v9
	v_cndmask_b32_e32 v29, v29, v12, vcc_lo
	v_cmp_lt_f32_e32 vcc_lo, v11, v28
	v_add_f32_e32 v2, v38, v16
	v_pk_add_f32 v[6:7], v[6:7], v[4:5]
	v_div_fixup_f32 v12, v13, v3, v39
	s_delay_alu instid0(VALU_DEP_3) | instskip(NEXT) | instid1(VALU_DEP_3)
	v_dual_cndmask_b32 v28, v28, v11, vcc_lo :: v_dual_add_f32 v2, v9, v2
	v_mov_b64_e32 v[14:15], v[6:7]
	s_delay_alu instid0(VALU_DEP_2)
	v_dual_add_f32 v30, v30, v12 :: v_dual_add_f32 v34, v8, v2
.LBB9_38:
	s_or_b32 exec_lo, exec_lo, s8
	v_cmp_gt_u32_e32 vcc_lo, 24, v1
	v_add_nc_u32_e32 v8, 8, v1
	s_mov_b32 s8, exec_lo
	s_wait_dscnt 0x0
	v_cndmask_b32_e64 v2, 0, 8, vcc_lo
	s_delay_alu instid0(VALU_DEP_1)
	v_add_lshl_u32 v2, v2, v1, 2
	ds_bpermute_b32 v9, v2, v3
	ds_bpermute_b32 v11, v2, v28
	;; [unrolled: 1-line block ×7, first 2 shown]
	v_cmpx_lt_u32_e64 v8, v10
	s_cbranch_execz .LBB9_40
; %bb.39:
	v_dual_mov_b32 v6, v31 :: v_dual_mov_b32 v7, v14
	s_wait_loadcnt_dscnt 0x2
	v_dual_mov_b32 v8, v5 :: v_dual_mul_f32 v16, v31, v5
	s_wait_dscnt 0x0
	v_dual_add_f32 v38, v34, v2 :: v_dual_mul_f32 v22, v9, v9
	v_sub_f32_e32 v27, v31, v9
	v_dual_mov_b32 v21, 0x40400000 :: v_dual_mov_b32 v20, v31
	v_pk_fma_f32 v[6:7], v[6:7], v[8:9], v[16:17] op_sel_hi:[1,1,0] neg_lo:[1,0,0] neg_hi:[1,0,0]
	v_dual_mov_b32 v8, v31 :: v_dual_sub_f32 v17, v13, v30
	v_dual_mov_b32 v13, v4 :: v_dual_mov_b32 v24, v9
	s_delay_alu instid0(VALU_DEP_2) | instskip(NEXT) | instid1(VALU_DEP_3)
	v_pk_mul_f32 v[18:19], v[30:31], v[8:9] op_sel:[1,0]
	v_dual_mul_f32 v16, v17, v17 :: v_dual_mov_b32 v23, v31
	v_mul_f32_e32 v39, v17, v9
	s_delay_alu instid0(VALU_DEP_4) | instskip(NEXT) | instid1(VALU_DEP_3)
	v_pk_add_f32 v[32:33], v[14:15], v[12:13]
	v_dual_mov_b32 v6, v19 :: v_dual_mul_f32 v19, v17, v16
	v_mov_b32_e32 v26, v31
	v_pk_mul_f32 v[20:21], v[20:21], v[16:17]
	v_mov_b32_e32 v37, v16
	s_delay_alu instid0(VALU_DEP_4) | instskip(SKIP_2) | instid1(VALU_DEP_2)
	v_pk_fma_f32 v[2:3], v[30:31], v[8:9], v[6:7] op_sel:[1,0,0] neg_lo:[0,0,1] neg_hi:[0,0,1]
	v_dual_mov_b32 v3, v9 :: v_dual_mul_f32 v6, v31, v19
	v_dual_mul_f32 v8, v17, v19 :: v_dual_mov_b32 v32, v14
	v_pk_add_f32 v[2:3], v[22:23], v[2:3]
	s_delay_alu instid0(VALU_DEP_2) | instskip(SKIP_1) | instid1(VALU_DEP_3)
	v_dual_mul_f32 v6, v6, v9 :: v_dual_mul_f32 v34, v31, v8
	v_dual_mov_b32 v36, v17 :: v_dual_mov_b32 v23, v9
	v_dual_mov_b32 v35, v3 :: v_dual_mov_b32 v25, v3
	v_div_scale_f32 v13, null, v3, v3, v39
	s_delay_alu instid0(VALU_DEP_4) | instskip(NEXT) | instid1(VALU_DEP_3)
	v_dual_mul_f32 v31, v27, v6 :: v_dual_mov_b32 v6, v9
	v_pk_mul_f32 v[24:25], v[34:35], v[24:25]
	s_delay_alu instid0(VALU_DEP_3) | instskip(SKIP_1) | instid1(VALU_DEP_3)
	v_rcp_f32_e32 v19, v13
	v_div_scale_f32 v16, vcc_lo, v39, v3, v39
	v_pk_mul_f32 v[6:7], v[20:21], v[6:7]
	s_delay_alu instid0(VALU_DEP_3) | instskip(SKIP_1) | instid1(TRANS32_DEP_1)
	v_div_scale_f32 v34, null, v25, v25, v31
	v_mov_b32_e32 v27, v18
	v_fma_f32 v8, -v13, v19, 1.0
	s_delay_alu instid0(VALU_DEP_4) | instskip(NEXT) | instid1(VALU_DEP_4)
	v_div_scale_f32 v21, null, v3, v3, v7
	v_rcp_f32_e32 v20, v34
	v_div_scale_f32 v35, null, v3, v3, v6
	s_delay_alu instid0(VALU_DEP_3) | instskip(SKIP_2) | instid1(TRANS32_DEP_2)
	v_fmac_f32_e32 v19, v8, v19
	v_div_scale_f32 v18, s2, v31, v25, v31
	v_rcp_f32_e32 v41, v21
	v_fma_f32 v8, -v34, v20, 1.0
	v_rcp_f32_e32 v42, v35
	v_div_scale_f32 v44, s3, v7, v3, v7
	s_delay_alu instid0(VALU_DEP_2) | instskip(SKIP_1) | instid1(TRANS32_DEP_2)
	v_fmac_f32_e32 v20, v8, v20
	v_mul_f32_e32 v40, v16, v19
	v_fma_f32 v17, -v21, v41, 1.0
	s_delay_alu instid0(VALU_DEP_3) | instskip(NEXT) | instid1(VALU_DEP_1)
	v_mul_f32_e32 v43, v18, v20
	v_dual_fma_f32 v8, -v13, v40, v16 :: v_dual_fma_f32 v45, -v34, v43, v18
	s_delay_alu instid0(VALU_DEP_1) | instskip(SKIP_3) | instid1(VALU_DEP_2)
	v_fmac_f32_e32 v40, v8, v19
	v_pk_mul_f32 v[8:9], v[14:15], v[22:23]
	v_fma_f32 v22, -v35, v42, 1.0
	v_mov_b64_e32 v[14:15], 0x40c0000040800000
	v_dual_fmac_f32 v43, v45, v20 :: v_dual_fmac_f32 v42, v22, v42
	v_fmac_f32_e32 v41, v17, v41
	v_fma_f32 v13, -v13, v40, v16
	v_pk_fma_f32 v[16:17], v[26:27], v[4:5], v[8:9] op_sel:[0,0,1] op_sel_hi:[1,1,0]
	v_pk_fma_f32 v[8:9], v[26:27], v[4:5], v[8:9] op_sel:[0,0,1] op_sel_hi:[1,1,0] neg_lo:[0,0,1] neg_hi:[0,0,1]
	v_fma_f32 v16, -v34, v43, v18
	v_pk_mul_f32 v[14:15], v[36:37], v[14:15]
	v_div_fmas_f32 v13, v13, v19, v40
	v_pk_mul_f32 v[18:19], v[2:3], v[24:25]
	v_dual_mov_b32 v9, v17 :: v_dual_mul_f32 v2, v44, v41
	s_mov_b32 vcc_lo, s2
	s_delay_alu instid0(VALU_DEP_2) | instskip(NEXT) | instid1(VALU_DEP_2)
	v_div_scale_f32 v4, null, v19, v19, v18
	v_pk_mul_f32 v[8:9], v[14:15], v[8:9]
	v_div_scale_f32 v14, s4, v6, v3, v6
	s_delay_alu instid0(VALU_DEP_3) | instskip(SKIP_1) | instid1(VALU_DEP_3)
	v_rcp_f32_e32 v15, v4
	v_div_fmas_f32 v16, v16, v20, v43
	v_div_scale_f32 v17, null, v3, v3, v8
	v_div_scale_f32 v26, null, v25, v25, v9
	v_mul_f32_e32 v24, v14, v42
	s_delay_alu instid0(VALU_DEP_3) | instskip(NEXT) | instid1(TRANS32_DEP_2)
	v_rcp_f32_e32 v23, v17
	v_fma_f32 v22, -v4, v15, 1.0
	v_fma_f32 v20, -v21, v2, v44
	v_rcp_f32_e32 v34, v26
	s_mov_b32 vcc_lo, s3
	s_delay_alu instid0(VALU_DEP_2) | instskip(SKIP_3) | instid1(TRANS32_DEP_1)
	v_fmac_f32_e32 v15, v22, v15
	v_div_scale_f32 v22, s2, v18, v19, v18
	v_fma_f32 v27, -v17, v23, 1.0
	v_fmac_f32_e32 v2, v20, v41
	v_fma_f32 v37, -v26, v34, 1.0
	s_delay_alu instid0(VALU_DEP_4) | instskip(NEXT) | instid1(VALU_DEP_3)
	v_dual_mul_f32 v36, v22, v15 :: v_dual_fma_f32 v20, -v35, v24, v14
	v_dual_fma_f32 v21, -v21, v2, v44 :: v_dual_fmac_f32 v23, v27, v23
	v_div_scale_f32 v27, s5, v8, v3, v8
	s_delay_alu instid0(VALU_DEP_3) | instskip(NEXT) | instid1(VALU_DEP_4)
	v_fmac_f32_e32 v24, v20, v42
	v_fma_f32 v20, -v4, v36, v22
	s_delay_alu instid0(VALU_DEP_4) | instskip(NEXT) | instid1(VALU_DEP_4)
	v_div_fmas_f32 v2, v21, v41, v2
	v_dual_mul_f32 v40, v27, v23 :: v_dual_fmac_f32 v34, v37, v34
	v_div_scale_f32 v37, s6, v9, v25, v9
	s_delay_alu instid0(VALU_DEP_4) | instskip(SKIP_1) | instid1(VALU_DEP_2)
	v_dual_fmac_f32 v36, v20, v15 :: v_dual_fma_f32 v14, -v35, v24, v14
	s_mov_b32 vcc_lo, s4
	v_mul_f32_e32 v21, v37, v34
	v_fma_f32 v20, -v17, v40, v27
	v_div_fixup_f32 v7, v2, v3, v7
	v_div_fmas_f32 v24, v14, v42, v24
	s_mov_b32 vcc_lo, s2
	v_dual_fma_f32 v14, -v26, v21, v37 :: v_dual_fma_f32 v4, -v4, v36, v22
	v_fmac_f32_e32 v40, v20, v23
	s_delay_alu instid0(VALU_DEP_3) | instskip(NEXT) | instid1(VALU_DEP_3)
	v_div_fixup_f32 v6, v24, v3, v6
	v_fmac_f32_e32 v21, v14, v34
	s_delay_alu instid0(VALU_DEP_4)
	v_div_fmas_f32 v4, v4, v15, v36
	v_mov_b32_e32 v14, v5
	v_fma_f32 v5, -v17, v40, v27
	v_div_fixup_f32 v15, v16, v25, v31
	s_mov_b32 vcc_lo, s5
	v_div_fixup_f32 v16, v4, v19, v18
	v_fma_f32 v4, -v26, v21, v37
	v_div_fmas_f32 v17, v5, v23, v40
	s_mov_b32 vcc_lo, s6
	v_mov_b32_e32 v31, v3
	s_delay_alu instid0(VALU_DEP_3) | instskip(SKIP_3) | instid1(VALU_DEP_4)
	v_div_fmas_f32 v18, v4, v34, v21
	v_cmp_lt_f32_e32 vcc_lo, v29, v12
	v_pk_add_f32 v[4:5], v[32:33], v[14:15]
	v_div_fixup_f32 v8, v17, v3, v8
	v_div_fixup_f32 v9, v18, v25, v9
	v_cndmask_b32_e32 v29, v29, v12, vcc_lo
	v_cmp_lt_f32_e32 vcc_lo, v11, v28
	v_add_f32_e32 v2, v38, v16
	v_pk_add_f32 v[6:7], v[6:7], v[4:5]
	v_div_fixup_f32 v12, v13, v3, v39
	s_delay_alu instid0(VALU_DEP_3) | instskip(NEXT) | instid1(VALU_DEP_3)
	v_dual_cndmask_b32 v28, v28, v11, vcc_lo :: v_dual_add_f32 v2, v9, v2
	v_mov_b64_e32 v[14:15], v[6:7]
	s_delay_alu instid0(VALU_DEP_2)
	v_dual_add_f32 v30, v30, v12 :: v_dual_add_f32 v34, v8, v2
.LBB9_40:
	s_or_b32 exec_lo, exec_lo, s8
	s_wait_dscnt 0x4
	v_lshlrev_b32_e32 v12, 2, v1
	s_mov_b32 s8, exec_lo
	s_wait_dscnt 0x1
	s_delay_alu instid0(VALU_DEP_1)
	v_or_b32_e32 v4, 64, v12
	ds_bpermute_b32 v5, v4, v3
	ds_bpermute_b32 v8, v4, v28
	;; [unrolled: 1-line block ×5, first 2 shown]
	s_wait_dscnt 0x5
	ds_bpermute_b32 v2, v4, v7
	ds_bpermute_b32 v6, v4, v34
	v_add_nc_u32_e32 v4, 16, v1
	s_delay_alu instid0(VALU_DEP_1)
	v_cmpx_lt_u32_e64 v4, v10
	s_cbranch_execz .LBB9_42
; %bb.41:
	s_wait_loadcnt 0x0
	v_dual_mov_b32 v16, v31 :: v_dual_mov_b32 v17, v14
	s_wait_dscnt 0x1
	v_dual_mov_b32 v4, v3 :: v_dual_mov_b32 v7, v2
	v_dual_mul_f32 v10, v31, v3 :: v_dual_mul_f32 v22, v5, v5
	v_dual_mov_b32 v23, v31 :: v_dual_sub_f32 v13, v31, v5
	v_mov_b32_e32 v20, v31
	s_delay_alu instid0(VALU_DEP_3)
	v_pk_fma_f32 v[16:17], v[16:17], v[4:5], v[10:11] op_sel_hi:[1,1,0] neg_lo:[1,0,0] neg_hi:[1,0,0]
	v_mov_b32_e32 v4, v31
	v_sub_f32_e32 v11, v11, v30
	s_wait_dscnt 0x0
	v_dual_mov_b32 v21, 0x40400000 :: v_dual_add_f32 v38, v34, v6
	v_mov_b32_e32 v6, v5
	v_pk_mul_f32 v[18:19], v[30:31], v[4:5] op_sel:[1,0]
	v_dual_mul_f32 v10, v11, v11 :: v_dual_mul_f32 v39, v11, v5
	s_delay_alu instid0(VALU_DEP_3) | instskip(NEXT) | instid1(VALU_DEP_3)
	v_pk_add_f32 v[32:33], v[14:15], v[6:7]
	v_mov_b32_e32 v16, v19
	s_delay_alu instid0(VALU_DEP_3)
	v_mul_f32_e32 v19, v11, v10
	v_mov_b32_e32 v26, v31
	v_pk_mul_f32 v[20:21], v[20:21], v[10:11]
	v_dual_mov_b32 v37, v10 :: v_dual_mov_b32 v27, v18
	v_pk_fma_f32 v[24:25], v[30:31], v[4:5], v[16:17] op_sel:[1,0,0] neg_lo:[0,0,1] neg_hi:[0,0,1]
	v_dual_mov_b32 v25, v5 :: v_dual_mul_f32 v4, v31, v19
	v_dual_mul_f32 v16, v11, v19 :: v_dual_mov_b32 v32, v14
	s_delay_alu instid0(VALU_DEP_2) | instskip(NEXT) | instid1(VALU_DEP_2)
	v_pk_add_f32 v[24:25], v[22:23], v[24:25]
	v_dual_mul_f32 v4, v4, v5 :: v_dual_mul_f32 v34, v31, v16
	v_dual_mov_b32 v36, v11 :: v_dual_mov_b32 v16, v5
	s_delay_alu instid0(VALU_DEP_3) | instskip(SKIP_1) | instid1(VALU_DEP_4)
	v_dual_mov_b32 v35, v25 :: v_dual_mov_b32 v7, v25
	v_div_scale_f32 v19, null, v25, v25, v39
	v_mul_f32_e32 v13, v13, v4
	s_delay_alu instid0(VALU_DEP_4) | instskip(NEXT) | instid1(VALU_DEP_4)
	v_pk_mul_f32 v[10:11], v[20:21], v[16:17]
	v_pk_mul_f32 v[6:7], v[34:35], v[6:7]
	s_delay_alu instid0(VALU_DEP_4) | instskip(SKIP_1) | instid1(VALU_DEP_3)
	v_rcp_f32_e32 v31, v19
	v_div_scale_f32 v16, vcc_lo, v39, v25, v39
	v_div_scale_f32 v21, null, v25, v25, v11
	s_delay_alu instid0(VALU_DEP_3) | instskip(NEXT) | instid1(TRANS32_DEP_1)
	v_div_scale_f32 v34, null, v7, v7, v13
	v_fma_f32 v4, -v19, v31, 1.0
	v_div_scale_f32 v18, s2, v13, v7, v13
	s_delay_alu instid0(VALU_DEP_3) | instskip(SKIP_1) | instid1(VALU_DEP_2)
	v_rcp_f32_e32 v20, v34
	v_rcp_f32_e32 v41, v21
	v_fmac_f32_e32 v31, v4, v31
	v_div_scale_f32 v44, s3, v11, v25, v11
	v_mov_b32_e32 v23, v5
	v_div_scale_f32 v35, null, v25, v25, v10
	s_delay_alu instid0(TRANS32_DEP_2) | instskip(NEXT) | instid1(TRANS32_DEP_1)
	v_fma_f32 v4, -v34, v20, 1.0
	v_fma_f32 v17, -v21, v41, 1.0
	s_delay_alu instid0(VALU_DEP_3) | instskip(NEXT) | instid1(VALU_DEP_2)
	v_rcp_f32_e32 v42, v35
	v_fmac_f32_e32 v20, v4, v20
	s_delay_alu instid0(VALU_DEP_1) | instskip(NEXT) | instid1(VALU_DEP_1)
	v_dual_mul_f32 v40, v16, v31 :: v_dual_mul_f32 v43, v18, v20
	v_dual_fma_f32 v4, -v19, v40, v16 :: v_dual_fma_f32 v45, -v34, v43, v18
	s_delay_alu instid0(VALU_DEP_1)
	v_fmac_f32_e32 v40, v4, v31
	v_pk_mul_f32 v[4:5], v[14:15], v[22:23]
	v_mov_b64_e32 v[14:15], 0x40c0000040800000
	v_fmac_f32_e32 v41, v17, v41
	v_fma_f32 v22, -v35, v42, 1.0
	v_fma_f32 v19, -v19, v40, v16
	v_fmac_f32_e32 v43, v45, v20
	v_pk_fma_f32 v[16:17], v[26:27], v[2:3], v[4:5] op_sel:[0,0,1] op_sel_hi:[1,1,0]
	v_pk_fma_f32 v[4:5], v[26:27], v[2:3], v[4:5] op_sel:[0,0,1] op_sel_hi:[1,1,0] neg_lo:[0,0,1] neg_hi:[0,0,1]
	v_pk_mul_f32 v[14:15], v[36:37], v[14:15]
	v_div_fmas_f32 v16, v19, v31, v40
	v_dual_mul_f32 v2, v44, v41 :: v_dual_fma_f32 v23, -v34, v43, v18
	v_mov_b32_e32 v5, v17
	v_pk_mul_f32 v[18:19], v[24:25], v[6:7]
	s_mov_b32 vcc_lo, s2
	s_delay_alu instid0(VALU_DEP_3) | instskip(NEXT) | instid1(VALU_DEP_3)
	v_div_fmas_f32 v20, v23, v20, v43
	v_pk_mul_f32 v[4:5], v[14:15], v[4:5]
	s_delay_alu instid0(VALU_DEP_3) | instskip(SKIP_1) | instid1(VALU_DEP_3)
	v_div_scale_f32 v6, null, v19, v19, v18
	v_div_scale_f32 v14, s4, v10, v25, v10
	v_div_scale_f32 v17, null, v25, v25, v4
	s_delay_alu instid0(VALU_DEP_3) | instskip(SKIP_1) | instid1(VALU_DEP_2)
	v_rcp_f32_e32 v15, v6
	v_div_scale_f32 v27, null, v7, v7, v5
	v_rcp_f32_e32 v24, v17
	s_mov_b32 vcc_lo, s3
	s_delay_alu instid0(VALU_DEP_1) | instskip(NEXT) | instid1(TRANS32_DEP_3)
	v_rcp_f32_e32 v34, v27
	v_fma_f32 v23, -v6, v15, 1.0
	v_fmac_f32_e32 v42, v22, v42
	s_delay_alu instid0(TRANS32_DEP_2) | instskip(NEXT) | instid1(VALU_DEP_2)
	v_fma_f32 v31, -v17, v24, 1.0
	v_dual_fmac_f32 v15, v23, v15 :: v_dual_mul_f32 v26, v14, v42
	v_div_scale_f32 v23, s2, v18, v19, v18
	v_fma_f32 v22, -v21, v2, v44
	s_delay_alu instid0(VALU_DEP_4) | instskip(SKIP_1) | instid1(VALU_DEP_3)
	v_fmac_f32_e32 v24, v31, v24
	v_div_scale_f32 v31, s5, v4, v25, v4
	v_dual_mul_f32 v36, v23, v15 :: v_dual_fmac_f32 v2, v22, v41
	v_fma_f32 v22, -v35, v26, v14
	v_fma_f32 v37, -v27, v34, 1.0
	s_delay_alu instid0(VALU_DEP_3) | instskip(NEXT) | instid1(VALU_DEP_3)
	v_dual_mul_f32 v40, v31, v24 :: v_dual_fma_f32 v21, -v21, v2, v44
	v_fmac_f32_e32 v26, v22, v42
	v_fma_f32 v22, -v6, v36, v23
	s_delay_alu instid0(VALU_DEP_3) | instskip(SKIP_1) | instid1(VALU_DEP_2)
	v_div_fmas_f32 v21, v21, v41, v2
	s_mov_b32 vcc_lo, s4
	v_dual_fmac_f32 v36, v22, v15 :: v_dual_fmac_f32 v34, v37, v34
	v_div_scale_f32 v37, s6, v5, v7, v5
	v_fma_f32 v2, -v35, v26, v14
	v_div_fixup_f32 v11, v21, v25, v11
	s_delay_alu instid0(VALU_DEP_2) | instskip(NEXT) | instid1(VALU_DEP_4)
	v_div_fmas_f32 v26, v2, v42, v26
	v_dual_fma_f32 v2, -v6, v36, v23 :: v_dual_mul_f32 v22, v37, v34
	v_fma_f32 v14, -v17, v40, v31
	s_mov_b32 vcc_lo, s2
	s_delay_alu instid0(VALU_DEP_3) | instskip(NEXT) | instid1(VALU_DEP_3)
	v_div_fixup_f32 v10, v26, v25, v10
	v_div_fmas_f32 v2, v2, v15, v36
	s_delay_alu instid0(VALU_DEP_3) | instskip(SKIP_3) | instid1(VALU_DEP_3)
	v_dual_fma_f32 v6, -v27, v22, v37 :: v_dual_fmac_f32 v40, v14, v24
	v_mov_b32_e32 v14, v3
	s_mov_b32 vcc_lo, s5
	v_div_fixup_f32 v15, v20, v7, v13
	v_dual_fmac_f32 v22, v6, v34 :: v_dual_fma_f32 v3, -v17, v40, v31
	v_div_fixup_f32 v6, v2, v19, v18
	s_delay_alu instid0(VALU_DEP_2) | instskip(NEXT) | instid1(VALU_DEP_3)
	v_dual_mov_b32 v31, v25 :: v_dual_fma_f32 v2, -v27, v22, v37
	v_div_fmas_f32 v13, v3, v24, v40
	s_mov_b32 vcc_lo, s6
	s_delay_alu instid0(VALU_DEP_2)
	v_div_fmas_f32 v17, v2, v34, v22
	v_cmp_lt_f32_e32 vcc_lo, v29, v9
	v_add_f32_e32 v6, v38, v6
	v_pk_add_f32 v[2:3], v[32:33], v[14:15]
	v_div_fixup_f32 v4, v13, v25, v4
	v_div_fixup_f32 v5, v17, v7, v5
	v_cndmask_b32_e32 v29, v29, v9, vcc_lo
	v_div_fixup_f32 v7, v16, v25, v39
	v_cmp_lt_f32_e32 vcc_lo, v8, v28
	v_pk_add_f32 v[14:15], v[10:11], v[2:3]
	v_dual_add_f32 v5, v5, v6 :: v_dual_cndmask_b32 v28, v28, v8
	s_delay_alu instid0(VALU_DEP_1)
	v_dual_add_f32 v30, v30, v7 :: v_dual_add_f32 v34, v4, v5
.LBB9_42:
	s_or_b32 exec_lo, exec_lo, s8
	s_delay_alu instid0(SALU_CYCLE_1)
	s_mov_b32 s2, exec_lo
	v_cmpx_eq_u32_e32 0, v1
	s_cbranch_execz .LBB9_44
; %bb.43:
	s_wait_dscnt 0x1
	v_lshrrev_b32_e32 v2, 5, v0
	s_delay_alu instid0(VALU_DEP_1)
	v_mul_u32_u24_e32 v2, 28, v2
	ds_store_2addr_b32 v2, v31, v28 offset1:1
	ds_store_2addr_b32 v2, v29, v30 offset0:2 offset1:3
	ds_store_2addr_b32 v2, v14, v15 offset0:4 offset1:5
	ds_store_b32 v2, v34 offset:24
.LBB9_44:
	s_or_b32 exec_lo, exec_lo, s2
	s_delay_alu instid0(SALU_CYCLE_1)
	s_mov_b32 s8, exec_lo
	s_wait_loadcnt_dscnt 0x0
	s_barrier_signal -1
	s_barrier_wait -1
	v_cmpx_gt_u32_e32 8, v0
	s_cbranch_execz .LBB9_52
; %bb.45:
	v_mul_u32_u24_e32 v4, 28, v1
	v_and_b32_e32 v13, 7, v1
	s_add_co_i32 s7, s7, 31
	s_mov_b32 s23, exec_lo
	s_lshr_b32 s7, s7, 5
	ds_load_2addr_b32 v[2:3], v4 offset1:3
	ds_load_2addr_b32 v[28:29], v4 offset0:1 offset1:2
	ds_load_2addr_b32 v[14:15], v4 offset0:4 offset1:5
	ds_load_b32 v34, v4 offset:24
	v_cmp_ne_u32_e32 vcc_lo, 7, v13
	v_add_co_ci_u32_e64 v4, null, 0, v1, vcc_lo
	s_delay_alu instid0(VALU_DEP_1)
	v_lshlrev_b32_e32 v6, 2, v4
	s_wait_dscnt 0x3
	ds_bpermute_b32 v7, v6, v2
	s_wait_dscnt 0x3
	ds_bpermute_b32 v16, v6, v28
	ds_bpermute_b32 v17, v6, v29
	;; [unrolled: 1-line block ×3, first 2 shown]
	s_wait_dscnt 0x5
	ds_bpermute_b32 v5, v6, v14
	ds_bpermute_b32 v4, v6, v15
	s_wait_dscnt 0x6
	ds_bpermute_b32 v18, v6, v34
	v_mov_b64_e32 v[8:9], v[2:3]
	v_dual_add_nc_u32 v6, 1, v13 :: v_dual_mov_b32 v30, v3
	v_dual_mov_b32 v31, v2 :: v_dual_mov_b32 v11, v15
	v_mov_b32_e32 v10, v14
	s_delay_alu instid0(VALU_DEP_3)
	v_cmpx_gt_u32_e64 s7, v6
	s_cbranch_execz .LBB9_47
; %bb.46:
	s_wait_dscnt 0x3
	v_dual_mov_b32 v6, v2 :: v_dual_sub_f32 v9, v19, v3
	v_dual_mul_f32 v26, v7, v7 :: v_dual_mov_b32 v27, v2
	s_wait_dscnt 0x1
	v_dual_mov_b32 v11, v4 :: v_dual_sub_f32 v19, v2, v7
	s_delay_alu instid0(VALU_DEP_3) | instskip(SKIP_3) | instid1(VALU_DEP_4)
	v_pk_mul_f32 v[20:21], v[2:3], v[6:7] op_sel_hi:[0,1]
	v_dual_mul_f32 v10, v2, v5 :: v_dual_mov_b32 v22, v5
	v_mov_b32_e32 v23, v14
	v_dual_mov_b32 v25, 0x40400000 :: v_dual_mov_b32 v24, v2
	v_mov_b32_e32 v8, v21
	v_mov_b64_e32 v[32:33], 0x40c0000040800000
	s_wait_dscnt 0x0
	v_dual_add_f32 v36, v34, v18 :: v_dual_mov_b32 v18, v7
	v_mul_f32_e32 v21, v9, v7
	v_pk_fma_f32 v[30:31], v[2:3], v[6:7], v[8:9] op_sel_hi:[0,1,1] neg_lo:[0,0,1] neg_hi:[0,0,1]
	v_dual_mov_b32 v31, v7 :: v_dual_mul_f32 v8, v9, v9
	v_pk_add_f32 v[34:35], v[14:15], v[10:11]
	v_pk_fma_f32 v[10:11], v[6:7], v[22:23], v[10:11] op_sel_hi:[1,1,0] neg_lo:[1,0,0] neg_hi:[1,0,0]
	v_mov_b32_e32 v22, v9
	s_delay_alu instid0(VALU_DEP_4) | instskip(SKIP_3) | instid1(VALU_DEP_4)
	v_pk_add_f32 v[30:31], v[26:27], v[30:31]
	v_dual_mov_b32 v10, v7 :: v_dual_mul_f32 v6, v9, v8
	v_pk_mul_f32 v[24:25], v[24:25], v[8:9]
	v_dual_mov_b32 v23, v8 :: v_dual_mov_b32 v34, v14
	v_div_scale_f32 v37, null, v31, v31, v21
	s_delay_alu instid0(VALU_DEP_4) | instskip(NEXT) | instid1(VALU_DEP_4)
	v_dual_mul_f32 v8, v2, v6 :: v_dual_mul_f32 v6, v9, v6
	v_pk_mul_f32 v[10:11], v[24:25], v[10:11]
	s_delay_alu instid0(VALU_DEP_3) | instskip(SKIP_1) | instid1(VALU_DEP_3)
	v_rcp_f32_e32 v38, v37
	v_div_scale_f32 v24, vcc_lo, v21, v31, v21
	v_dual_mul_f32 v8, v8, v7 :: v_dual_mul_f32 v6, v2, v6
	v_pk_mul_f32 v[22:23], v[22:23], v[32:33]
	v_div_scale_f32 v25, null, v31, v31, v11
	s_delay_alu instid0(TRANS32_DEP_1) | instskip(SKIP_2) | instid1(VALU_DEP_3)
	v_fma_f32 v9, -v37, v38, 1.0
	v_dual_mov_b32 v27, v7 :: v_dual_mov_b32 v7, v31
	v_div_scale_f32 v39, null, v31, v31, v10
	v_dual_fmac_f32 v38, v9, v38 :: v_dual_mul_f32 v8, v19, v8
	v_mov_b32_e32 v19, v31
	s_delay_alu instid0(VALU_DEP_4) | instskip(SKIP_1) | instid1(VALU_DEP_3)
	v_pk_mul_f32 v[14:15], v[14:15], v[26:27]
	v_rcp_f32_e32 v26, v25
	v_mul_f32_e32 v9, v24, v38
	v_rcp_f32_e32 v27, v39
	v_pk_mul_f32 v[6:7], v[6:7], v[18:19]
	v_div_scale_f32 v32, s2, v11, v31, v11
	s_delay_alu instid0(VALU_DEP_3) | instskip(SKIP_1) | instid1(VALU_DEP_2)
	v_fma_f32 v33, -v37, v9, v24
	v_div_scale_f32 v40, s3, v10, v31, v10
	v_fmac_f32_e32 v9, v33, v38
	s_delay_alu instid0(VALU_DEP_1) | instskip(SKIP_1) | instid1(VALU_DEP_2)
	v_fma_f32 v18, -v37, v9, v24
	v_div_scale_f32 v24, null, v7, v7, v8
	v_div_fmas_f32 v9, v18, v38, v9
	v_pk_mul_f32 v[18:19], v[30:31], v[6:7]
	v_fma_f32 v6, -v25, v26, 1.0
	s_delay_alu instid0(VALU_DEP_4) | instskip(SKIP_4) | instid1(VALU_DEP_3)
	v_rcp_f32_e32 v30, v24
	v_div_scale_f32 v33, vcc_lo, v8, v7, v8
	v_div_fixup_f32 v9, v9, v31, v21
	v_fma_f32 v21, -v39, v27, 1.0
	v_div_scale_f32 v37, null, v19, v19, v18
	v_dual_fmac_f32 v26, v6, v26 :: v_dual_add_f32 v9, v3, v9
	s_delay_alu instid0(VALU_DEP_3) | instskip(NEXT) | instid1(VALU_DEP_3)
	v_dual_mov_b32 v3, v20 :: v_dual_fmac_f32 v27, v21, v27
	v_rcp_f32_e32 v6, v37
	s_delay_alu instid0(VALU_DEP_2) | instskip(SKIP_1) | instid1(VALU_DEP_3)
	v_mul_f32_e32 v41, v32, v26
	v_div_scale_f32 v38, s4, v18, v19, v18
	v_pk_fma_f32 v[20:21], v[2:3], v[4:5], v[14:15] op_sel:[0,0,1] op_sel_hi:[1,1,0]
	v_pk_fma_f32 v[2:3], v[2:3], v[4:5], v[14:15] op_sel:[0,0,1] op_sel_hi:[1,1,0] neg_lo:[0,0,1] neg_hi:[0,0,1]
	v_fma_f32 v20, -v24, v30, 1.0
	v_mul_f32_e32 v42, v40, v27
	v_fma_f32 v4, -v37, v6, 1.0
	v_mov_b32_e32 v3, v21
	s_delay_alu instid0(VALU_DEP_4) | instskip(NEXT) | instid1(VALU_DEP_2)
	v_dual_fma_f32 v14, -v25, v41, v32 :: v_dual_fmac_f32 v30, v20, v30
	v_pk_mul_f32 v[2:3], v[22:23], v[2:3]
	s_delay_alu instid0(VALU_DEP_2) | instskip(SKIP_1) | instid1(VALU_DEP_4)
	v_fmac_f32_e32 v41, v14, v26
	v_fmac_f32_e32 v6, v4, v6
	v_mul_f32_e32 v20, v33, v30
	v_fma_f32 v15, -v39, v42, v40
	v_div_scale_f32 v4, null, v7, v7, v3
	v_div_scale_f32 v22, null, v31, v31, v2
	s_delay_alu instid0(VALU_DEP_4) | instskip(NEXT) | instid1(VALU_DEP_3)
	v_fma_f32 v14, -v24, v20, v33
	v_rcp_f32_e32 v23, v4
	v_dual_fmac_f32 v42, v15, v27 :: v_dual_fma_f32 v15, -v25, v41, v32
	s_delay_alu instid0(VALU_DEP_3) | instskip(SKIP_1) | instid1(TRANS32_DEP_2)
	v_rcp_f32_e32 v43, v22
	v_div_scale_f32 v32, s5, v3, v7, v3
	v_fma_f32 v25, -v4, v23, 1.0
	s_delay_alu instid0(VALU_DEP_1) | instskip(NEXT) | instid1(VALU_DEP_1)
	v_dual_fmac_f32 v20, v14, v30 :: v_dual_fmac_f32 v23, v25, v23
	v_dual_mul_f32 v21, v38, v6 :: v_dual_fma_f32 v24, -v24, v20, v33
	s_delay_alu instid0(VALU_DEP_1) | instskip(NEXT) | instid1(VALU_DEP_2)
	v_dual_mul_f32 v25, v32, v23 :: v_dual_fma_f32 v14, -v37, v21, v38
	v_div_fmas_f32 v20, v24, v30, v20
	v_div_scale_f32 v24, s6, v2, v31, v2
	s_mov_b32 vcc_lo, s2
	v_fmac_f32_e32 v21, v14, v6
	v_fma_f32 v14, -v22, v43, 1.0
	v_div_fmas_f32 v26, v15, v26, v41
	s_mov_b32 vcc_lo, s3
	s_delay_alu instid0(VALU_DEP_2) | instskip(NEXT) | instid1(VALU_DEP_1)
	v_dual_fmac_f32 v43, v14, v43 :: v_dual_fma_f32 v14, -v39, v42, v40
	v_dual_fma_f32 v15, -v37, v21, v38 :: v_dual_mul_f32 v30, v24, v43
	s_delay_alu instid0(VALU_DEP_2) | instskip(SKIP_1) | instid1(VALU_DEP_2)
	v_div_fmas_f32 v27, v14, v27, v42
	s_mov_b32 vcc_lo, s4
	v_div_fmas_f32 v6, v15, v6, v21
	s_delay_alu instid0(VALU_DEP_3) | instskip(SKIP_3) | instid1(VALU_DEP_3)
	v_fma_f32 v14, -v22, v30, v24
	v_fma_f32 v33, -v4, v25, v32
	s_mov_b32 vcc_lo, s5
	v_div_fixup_f32 v15, v20, v7, v8
	v_fmac_f32_e32 v30, v14, v43
	s_delay_alu instid0(VALU_DEP_3) | instskip(SKIP_2) | instid1(VALU_DEP_4)
	v_fmac_f32_e32 v25, v33, v23
	v_mov_b32_e32 v14, v5
	v_div_fixup_f32 v5, v6, v19, v18
	v_fma_f32 v6, -v22, v30, v24
	s_delay_alu instid0(VALU_DEP_4) | instskip(NEXT) | instid1(VALU_DEP_3)
	v_fma_f32 v4, -v4, v25, v32
	v_add_f32_e32 v8, v36, v5
	v_div_fixup_f32 v5, v26, v31, v11
	s_delay_alu instid0(VALU_DEP_3) | instskip(SKIP_3) | instid1(VALU_DEP_3)
	v_div_fmas_f32 v4, v4, v23, v25
	s_mov_b32 vcc_lo, s6
	v_div_fmas_f32 v18, v6, v43, v30
	v_cmp_lt_f32_e32 vcc_lo, v29, v17
	v_div_fixup_f32 v3, v4, v7, v3
	v_div_fixup_f32 v4, v27, v31, v10
	v_pk_add_f32 v[6:7], v[34:35], v[14:15]
	v_div_fixup_f32 v2, v18, v31, v2
	s_delay_alu instid0(VALU_DEP_4) | instskip(SKIP_1) | instid1(VALU_DEP_4)
	v_dual_cndmask_b32 v29, v29, v17, vcc_lo :: v_dual_add_f32 v3, v3, v8
	v_cmp_lt_f32_e32 vcc_lo, v16, v28
	v_pk_add_f32 v[10:11], v[4:5], v[6:7]
	s_delay_alu instid0(VALU_DEP_3) | instskip(SKIP_1) | instid1(VALU_DEP_3)
	v_dual_mov_b32 v30, v9 :: v_dual_add_f32 v34, v2, v3
	v_cndmask_b32_e32 v28, v28, v16, vcc_lo
	v_mov_b64_e32 v[14:15], v[10:11]
	v_mov_b32_e32 v2, v31
.LBB9_47:
	s_or_b32 exec_lo, exec_lo, s23
	v_cmp_gt_u32_e32 vcc_lo, 6, v13
	s_wait_dscnt 0x5
	v_add_nc_u32_e32 v16, 2, v13
	s_mov_b32 s23, exec_lo
	v_cndmask_b32_e64 v3, 0, 2, vcc_lo
	s_delay_alu instid0(VALU_DEP_1)
	v_add_lshl_u32 v7, v3, v1, 2
	ds_bpermute_b32 v3, v7, v2
	ds_bpermute_b32 v1, v7, v28
	ds_bpermute_b32 v6, v7, v29
	ds_bpermute_b32 v8, v7, v9
	s_wait_dscnt 0x6
	ds_bpermute_b32 v5, v7, v10
	s_wait_dscnt 0x6
	ds_bpermute_b32 v4, v7, v11
	ds_bpermute_b32 v7, v7, v34
	v_cmpx_gt_u32_e64 s7, v16
	s_cbranch_execz .LBB9_49
; %bb.48:
	v_dual_mov_b32 v10, v31 :: v_dual_mov_b32 v11, v14
	s_wait_dscnt 0x2
	v_dual_mov_b32 v2, v5 :: v_dual_mul_f32 v16, v31, v5
	s_wait_dscnt 0x0
	v_dual_add_f32 v7, v34, v7 :: v_dual_mov_b32 v23, v31
	v_dual_sub_f32 v9, v8, v30 :: v_dual_sub_f32 v27, v31, v3
	s_delay_alu instid0(VALU_DEP_3) | instskip(SKIP_2) | instid1(VALU_DEP_4)
	v_pk_fma_f32 v[10:11], v[10:11], v[2:3], v[16:17] op_sel_hi:[1,1,0] neg_lo:[1,0,0] neg_hi:[1,0,0]
	v_dual_mov_b32 v2, v31 :: v_dual_mov_b32 v17, v4
	v_dual_mov_b32 v21, 0x40400000 :: v_dual_mov_b32 v20, v31
	v_mov_b32_e32 v36, v9
	s_delay_alu instid0(VALU_DEP_3) | instskip(SKIP_1) | instid1(VALU_DEP_2)
	v_pk_mul_f32 v[18:19], v[30:31], v[2:3] op_sel:[1,0]
	v_dual_mul_f32 v8, v9, v9 :: v_dual_mul_f32 v22, v3, v3
	v_dual_mov_b32 v16, v3 :: v_dual_mov_b32 v10, v19
	s_delay_alu instid0(VALU_DEP_2) | instskip(SKIP_2) | instid1(VALU_DEP_4)
	v_dual_mul_f32 v19, v9, v8 :: v_dual_mov_b32 v26, v31
	v_pk_mul_f32 v[20:21], v[20:21], v[8:9]
	v_mov_b32_e32 v37, v8
	v_pk_fma_f32 v[24:25], v[30:31], v[2:3], v[10:11] op_sel:[1,0,0] neg_lo:[0,0,1] neg_hi:[0,0,1]
	v_mov_b32_e32 v25, v3
	v_dual_mul_f32 v2, v31, v19 :: v_dual_mul_f32 v10, v9, v19
	v_mul_f32_e32 v38, v9, v3
	v_pk_add_f32 v[32:33], v[14:15], v[16:17]
	s_delay_alu instid0(VALU_DEP_4) | instskip(NEXT) | instid1(VALU_DEP_4)
	v_pk_add_f32 v[24:25], v[22:23], v[24:25]
	v_dual_mul_f32 v2, v2, v3 :: v_dual_mul_f32 v34, v31, v10
	v_dual_mov_b32 v10, v3 :: v_dual_mov_b32 v32, v14
	s_delay_alu instid0(VALU_DEP_3) | instskip(NEXT) | instid1(VALU_DEP_3)
	v_dual_mov_b32 v35, v25 :: v_dual_mov_b32 v17, v25
	v_mul_f32_e32 v31, v27, v2
	v_div_scale_f32 v19, null, v25, v25, v38
	s_delay_alu instid0(VALU_DEP_4) | instskip(NEXT) | instid1(VALU_DEP_4)
	v_pk_mul_f32 v[8:9], v[20:21], v[10:11]
	v_pk_mul_f32 v[16:17], v[34:35], v[16:17]
	v_div_scale_f32 v10, vcc_lo, v38, v25, v38
	s_delay_alu instid0(VALU_DEP_4) | instskip(NEXT) | instid1(VALU_DEP_3)
	v_rcp_f32_e32 v34, v19
	v_div_scale_f32 v21, null, v25, v25, v9
	s_delay_alu instid0(VALU_DEP_3) | instskip(SKIP_1) | instid1(VALU_DEP_3)
	v_div_scale_f32 v35, null, v17, v17, v31
	v_mov_b32_e32 v27, v18
	v_rcp_f32_e32 v41, v21
	s_delay_alu instid0(TRANS32_DEP_2) | instskip(NEXT) | instid1(VALU_DEP_3)
	v_fma_f32 v2, -v19, v34, 1.0
	v_rcp_f32_e32 v20, v35
	v_div_scale_f32 v18, s2, v31, v17, v31
	v_div_scale_f32 v39, null, v25, v25, v8
	s_delay_alu instid0(VALU_DEP_3) | instskip(NEXT) | instid1(TRANS32_DEP_1)
	v_dual_fmac_f32 v34, v2, v34 :: v_dual_mov_b32 v23, v3
	v_fma_f32 v2, -v35, v20, 1.0
	v_fma_f32 v11, -v21, v41, 1.0
	v_div_scale_f32 v44, s3, v9, v25, v9
	v_rcp_f32_e32 v42, v39
	s_delay_alu instid0(VALU_DEP_3) | instskip(NEXT) | instid1(VALU_DEP_3)
	v_fmac_f32_e32 v20, v2, v20
	v_dual_mul_f32 v40, v10, v34 :: v_dual_fmac_f32 v41, v11, v41
	s_delay_alu instid0(VALU_DEP_2) | instskip(NEXT) | instid1(VALU_DEP_2)
	v_mul_f32_e32 v43, v18, v20
	v_fma_f32 v2, -v19, v40, v10
	s_delay_alu instid0(VALU_DEP_1) | instskip(SKIP_2) | instid1(VALU_DEP_3)
	v_dual_fma_f32 v45, -v35, v43, v18 :: v_dual_fmac_f32 v40, v2, v34
	v_pk_mul_f32 v[2:3], v[14:15], v[22:23]
	v_fma_f32 v22, -v39, v42, 1.0
	v_fma_f32 v19, -v19, v40, v10
	v_mov_b64_e32 v[10:11], 0x40c0000040800000
	s_delay_alu instid0(VALU_DEP_4)
	v_pk_fma_f32 v[14:15], v[26:27], v[4:5], v[2:3] op_sel:[0,0,1] op_sel_hi:[1,1,0]
	v_fmac_f32_e32 v43, v45, v20
	v_pk_fma_f32 v[2:3], v[26:27], v[4:5], v[2:3] op_sel:[0,0,1] op_sel_hi:[1,1,0] neg_lo:[0,0,1] neg_hi:[0,0,1]
	v_div_fmas_f32 v14, v19, v34, v40
	s_mov_b32 vcc_lo, s2
	v_mov_b32_e32 v3, v15
	v_dual_fma_f32 v23, -v35, v43, v18 :: v_dual_mul_f32 v4, v44, v41
	v_pk_mul_f32 v[18:19], v[24:25], v[16:17]
	v_pk_mul_f32 v[10:11], v[36:37], v[10:11]
	v_fmac_f32_e32 v42, v22, v42
	s_delay_alu instid0(VALU_DEP_4) | instskip(SKIP_4) | instid1(VALU_DEP_3)
	v_div_fmas_f32 v20, v23, v20, v43
	v_fma_f32 v22, -v21, v4, v44
	v_div_scale_f32 v15, null, v19, v19, v18
	v_pk_mul_f32 v[2:3], v[10:11], v[2:3]
	v_div_scale_f32 v10, s4, v8, v25, v8
	v_rcp_f32_e32 v11, v15
	s_mov_b32 vcc_lo, s3
	s_delay_alu instid0(VALU_DEP_2) | instskip(SKIP_2) | instid1(VALU_DEP_3)
	v_div_scale_f32 v16, null, v25, v25, v2
	v_div_scale_f32 v27, null, v17, v17, v3
	v_div_fixup_f32 v14, v14, v25, v38
	v_rcp_f32_e32 v24, v16
	s_delay_alu instid0(TRANS32_DEP_2) | instskip(NEXT) | instid1(VALU_DEP_3)
	v_fma_f32 v23, -v15, v11, 1.0
	v_rcp_f32_e32 v35, v27
	v_mul_f32_e32 v26, v10, v42
	s_delay_alu instid0(VALU_DEP_2) | instskip(SKIP_1) | instid1(TRANS32_DEP_2)
	v_dual_add_f32 v30, v30, v14 :: v_dual_fmac_f32 v11, v23, v11
	v_div_scale_f32 v23, s2, v18, v19, v18
	v_fma_f32 v34, -v16, v24, 1.0
	s_delay_alu instid0(VALU_DEP_4) | instskip(NEXT) | instid1(VALU_DEP_3)
	v_dual_fmac_f32 v4, v22, v41 :: v_dual_fma_f32 v22, -v39, v26, v10
	v_mul_f32_e32 v36, v23, v11
	v_fma_f32 v37, -v27, v35, 1.0
	s_delay_alu instid0(VALU_DEP_4) | instskip(SKIP_3) | instid1(VALU_DEP_3)
	v_fmac_f32_e32 v24, v34, v24
	v_div_scale_f32 v34, s5, v2, v25, v2
	v_dual_fma_f32 v21, -v21, v4, v44 :: v_dual_fmac_f32 v26, v22, v42
	v_fma_f32 v22, -v15, v36, v23
	v_dual_mul_f32 v40, v34, v24 :: v_dual_fmac_f32 v35, v37, v35
	v_div_scale_f32 v37, s6, v3, v17, v3
	s_delay_alu instid0(VALU_DEP_4) | instskip(NEXT) | instid1(VALU_DEP_4)
	v_div_fmas_f32 v21, v21, v41, v4
	v_dual_fma_f32 v4, -v39, v26, v10 :: v_dual_fmac_f32 v36, v22, v11
	s_delay_alu instid0(VALU_DEP_3) | instskip(SKIP_1) | instid1(VALU_DEP_2)
	v_dual_fma_f32 v10, -v16, v40, v34 :: v_dual_mul_f32 v22, v37, v35
	s_mov_b32 vcc_lo, s4
	v_div_fmas_f32 v26, v4, v42, v26
	s_delay_alu instid0(VALU_DEP_3) | instskip(NEXT) | instid1(VALU_DEP_3)
	v_fma_f32 v4, -v15, v36, v23
	v_dual_fma_f32 v15, -v27, v22, v37 :: v_dual_fmac_f32 v40, v10, v24
	s_mov_b32 vcc_lo, s2
	v_mov_b32_e32 v10, v5
	s_delay_alu instid0(VALU_DEP_3) | instskip(NEXT) | instid1(VALU_DEP_3)
	v_div_fmas_f32 v4, v4, v11, v36
	v_fmac_f32_e32 v22, v15, v35
	v_fma_f32 v5, -v16, v40, v34
	s_mov_b32 vcc_lo, s5
	v_div_fixup_f32 v11, v20, v17, v31
	v_div_fixup_f32 v4, v4, v19, v18
	v_fma_f32 v15, -v27, v22, v37
	v_div_fmas_f32 v16, v5, v24, v40
	s_mov_b32 vcc_lo, s6
	v_mov_b32_e32 v31, v25
	s_delay_alu instid0(VALU_DEP_3)
	v_div_fmas_f32 v5, v15, v35, v22
	v_cmp_lt_f32_e32 vcc_lo, v29, v6
	v_add_f32_e32 v15, v7, v4
	v_div_fixup_f32 v7, v21, v25, v9
	v_div_fixup_f32 v2, v16, v25, v2
	;; [unrolled: 1-line block ×3, first 2 shown]
	v_cndmask_b32_e32 v29, v29, v6, vcc_lo
	v_pk_add_f32 v[4:5], v[32:33], v[10:11]
	v_div_fixup_f32 v6, v26, v25, v8
	v_cmp_lt_f32_e32 vcc_lo, v1, v28
	v_dual_add_f32 v3, v3, v15 :: v_dual_mov_b32 v9, v30
	s_delay_alu instid0(VALU_DEP_3) | instskip(NEXT) | instid1(VALU_DEP_2)
	v_pk_add_f32 v[10:11], v[6:7], v[4:5]
	v_dual_cndmask_b32 v28, v28, v1, vcc_lo :: v_dual_add_f32 v34, v2, v3
	v_mov_b32_e32 v2, v25
	s_delay_alu instid0(VALU_DEP_3)
	v_mov_b64_e32 v[14:15], v[10:11]
.LBB9_49:
	s_or_b32 exec_lo, exec_lo, s23
	s_wait_dscnt 0x1
	v_or_b32_e32 v4, 16, v12
	ds_bpermute_b32 v5, v4, v2
	ds_bpermute_b32 v1, v4, v28
	ds_bpermute_b32 v6, v4, v29
	ds_bpermute_b32 v8, v4, v9
	ds_bpermute_b32 v3, v4, v10
	ds_bpermute_b32 v2, v4, v11
	s_wait_dscnt 0x6
	ds_bpermute_b32 v7, v4, v34
	v_add_nc_u32_e32 v4, 4, v13
	s_delay_alu instid0(VALU_DEP_1)
	v_cmp_gt_u32_e32 vcc_lo, s7, v4
	s_and_saveexec_b32 s7, vcc_lo
	s_cbranch_execz .LBB9_51
; %bb.50:
	v_dual_mov_b32 v10, v31 :: v_dual_mov_b32 v11, v14
	s_wait_dscnt 0x2
	v_dual_mov_b32 v4, v3 :: v_dual_sub_f32 v9, v8, v30
	v_mul_f32_e32 v12, v31, v3
	s_wait_dscnt 0x0
	v_dual_add_f32 v7, v34, v7 :: v_dual_mul_f32 v20, v5, v5
	v_sub_f32_e32 v25, v31, v5
	v_mul_f32_e32 v8, v9, v9
	v_pk_fma_f32 v[10:11], v[10:11], v[4:5], v[12:13] op_sel_hi:[1,1,0] neg_lo:[1,0,0] neg_hi:[1,0,0]
	v_dual_mov_b32 v4, v31 :: v_dual_mov_b32 v13, v2
	v_dual_mov_b32 v19, 0x40400000 :: v_dual_mov_b32 v18, v31
	v_mov_b32_e32 v21, v31
	s_delay_alu instid0(VALU_DEP_3) | instskip(SKIP_1) | instid1(VALU_DEP_4)
	v_pk_mul_f32 v[16:17], v[30:31], v[4:5] op_sel:[1,0]
	v_dual_mov_b32 v24, v31 :: v_dual_mov_b32 v35, v8
	v_pk_mul_f32 v[18:19], v[18:19], v[8:9]
	s_delay_alu instid0(VALU_DEP_3) | instskip(SKIP_2) | instid1(VALU_DEP_3)
	v_dual_mov_b32 v34, v9 :: v_dual_mov_b32 v10, v17
	v_mul_f32_e32 v17, v9, v8
	v_mov_b32_e32 v12, v5
	v_pk_fma_f32 v[22:23], v[30:31], v[4:5], v[10:11] op_sel:[1,0,0] neg_lo:[0,0,1] neg_hi:[0,0,1]
	s_delay_alu instid0(VALU_DEP_3) | instskip(SKIP_1) | instid1(VALU_DEP_4)
	v_dual_mov_b32 v23, v5 :: v_dual_mul_f32 v4, v31, v17
	v_mul_f32_e32 v36, v9, v5
	v_pk_add_f32 v[26:27], v[14:15], v[12:13]
	v_mov_b32_e32 v26, v14
	s_delay_alu instid0(VALU_DEP_4) | instskip(SKIP_2) | instid1(VALU_DEP_3)
	v_pk_add_f32 v[22:23], v[20:21], v[22:23]
	v_mul_f32_e32 v10, v9, v17
	v_dual_mul_f32 v4, v4, v5 :: v_dual_mov_b32 v21, v5
	v_mov_b32_e32 v33, v23
	s_delay_alu instid0(VALU_DEP_3) | instskip(NEXT) | instid1(VALU_DEP_3)
	v_mul_f32_e32 v32, v31, v10
	v_dual_mov_b32 v13, v23 :: v_dual_mul_f32 v31, v25, v4
	v_div_scale_f32 v17, null, v23, v23, v36
	v_mov_b32_e32 v10, v5
	s_delay_alu instid0(VALU_DEP_3) | instskip(SKIP_1) | instid1(VALU_DEP_4)
	v_pk_mul_f32 v[12:13], v[32:33], v[12:13]
	v_mov_b32_e32 v25, v16
	v_rcp_f32_e32 v32, v17
	s_delay_alu instid0(VALU_DEP_3) | instskip(NEXT) | instid1(VALU_DEP_3)
	v_pk_mul_f32 v[8:9], v[18:19], v[10:11]
	v_div_scale_f32 v33, null, v13, v13, v31
	v_div_scale_f32 v10, vcc_lo, v36, v23, v36
	s_delay_alu instid0(TRANS32_DEP_1) | instskip(NEXT) | instid1(VALU_DEP_3)
	v_fma_f32 v4, -v17, v32, 1.0
	v_rcp_f32_e32 v18, v33
	v_div_scale_f32 v19, null, v23, v23, v9
	v_div_scale_f32 v16, s2, v31, v13, v31
	s_delay_alu instid0(VALU_DEP_3) | instskip(NEXT) | instid1(VALU_DEP_3)
	v_fmac_f32_e32 v32, v4, v32
	v_rcp_f32_e32 v39, v19
	s_delay_alu instid0(TRANS32_DEP_2) | instskip(SKIP_2) | instid1(VALU_DEP_3)
	v_fma_f32 v4, -v33, v18, 1.0
	v_div_scale_f32 v37, null, v23, v23, v8
	v_div_scale_f32 v42, s3, v9, v23, v9
	v_dual_fmac_f32 v18, v4, v18 :: v_dual_mul_f32 v38, v10, v32
	s_delay_alu instid0(TRANS32_DEP_1) | instskip(NEXT) | instid1(VALU_DEP_4)
	v_fma_f32 v11, -v19, v39, 1.0
	v_rcp_f32_e32 v40, v37
	s_delay_alu instid0(VALU_DEP_1) | instskip(NEXT) | instid1(VALU_DEP_1)
	v_dual_fma_f32 v4, -v17, v38, v10 :: v_dual_fmac_f32 v39, v11, v39
	v_fmac_f32_e32 v38, v4, v32
	v_pk_mul_f32 v[4:5], v[14:15], v[20:21]
	s_delay_alu instid0(TRANS32_DEP_1) | instskip(NEXT) | instid1(VALU_DEP_2)
	v_fma_f32 v20, -v37, v40, 1.0
	v_pk_fma_f32 v[14:15], v[24:25], v[2:3], v[4:5] op_sel:[0,0,1] op_sel_hi:[1,1,0]
	v_mul_f32_e32 v41, v16, v18
	v_pk_fma_f32 v[4:5], v[24:25], v[2:3], v[4:5] op_sel:[0,0,1] op_sel_hi:[1,1,0] neg_lo:[0,0,1] neg_hi:[0,0,1]
	s_delay_alu instid0(VALU_DEP_4) | instskip(NEXT) | instid1(VALU_DEP_3)
	v_dual_mul_f32 v2, v42, v39 :: v_dual_fmac_f32 v40, v20, v40
	v_dual_mov_b32 v5, v15 :: v_dual_fma_f32 v43, -v33, v41, v16
	v_fma_f32 v17, -v17, v38, v10
	v_mov_b64_e32 v[10:11], 0x40c0000040800000
	s_delay_alu instid0(VALU_DEP_4) | instskip(NEXT) | instid1(VALU_DEP_4)
	v_fma_f32 v20, -v19, v2, v42
	v_fmac_f32_e32 v41, v43, v18
	s_delay_alu instid0(VALU_DEP_4) | instskip(SKIP_1) | instid1(VALU_DEP_4)
	v_div_fmas_f32 v14, v17, v32, v38
	s_mov_b32 vcc_lo, s2
	v_pk_mul_f32 v[10:11], v[34:35], v[10:11]
	s_delay_alu instid0(VALU_DEP_3) | instskip(SKIP_1) | instid1(VALU_DEP_3)
	v_fma_f32 v21, -v33, v41, v16
	v_pk_mul_f32 v[16:17], v[22:23], v[12:13]
	v_pk_mul_f32 v[4:5], v[10:11], v[4:5]
	v_div_scale_f32 v10, s4, v8, v23, v8
	s_delay_alu instid0(VALU_DEP_3) | instskip(NEXT) | instid1(VALU_DEP_3)
	v_div_scale_f32 v12, null, v17, v17, v16
	v_div_scale_f32 v15, null, v23, v23, v4
	s_delay_alu instid0(VALU_DEP_4) | instskip(NEXT) | instid1(VALU_DEP_3)
	v_div_scale_f32 v25, null, v13, v13, v5
	v_rcp_f32_e32 v11, v12
	s_delay_alu instid0(VALU_DEP_2) | instskip(SKIP_1) | instid1(VALU_DEP_2)
	v_rcp_f32_e32 v22, v15
	v_div_fmas_f32 v18, v21, v18, v41
	v_rcp_f32_e32 v33, v25
	s_mov_b32 vcc_lo, s3
	s_delay_alu instid0(TRANS32_DEP_3) | instskip(SKIP_1) | instid1(TRANS32_DEP_2)
	v_fma_f32 v21, -v12, v11, 1.0
	v_mul_f32_e32 v24, v10, v40
	v_fma_f32 v32, -v15, v22, 1.0
	s_delay_alu instid0(TRANS32_DEP_1) | instskip(NEXT) | instid1(VALU_DEP_4)
	v_fma_f32 v35, -v25, v33, 1.0
	v_fmac_f32_e32 v11, v21, v11
	v_div_scale_f32 v21, s2, v16, v17, v16
	v_fmac_f32_e32 v2, v20, v39
	v_fmac_f32_e32 v22, v32, v22
	v_div_scale_f32 v32, s5, v4, v23, v4
	v_fma_f32 v20, -v37, v24, v10
	s_delay_alu instid0(VALU_DEP_2) | instskip(NEXT) | instid1(VALU_DEP_2)
	v_dual_mul_f32 v34, v21, v11 :: v_dual_mul_f32 v38, v32, v22
	v_fmac_f32_e32 v24, v20, v40
	s_delay_alu instid0(VALU_DEP_2) | instskip(SKIP_2) | instid1(VALU_DEP_1)
	v_fma_f32 v20, -v12, v34, v21
	v_fmac_f32_e32 v33, v35, v33
	v_div_scale_f32 v35, s6, v5, v13, v5
	v_dual_fmac_f32 v34, v20, v11 :: v_dual_mul_f32 v20, v35, v33
	v_fma_f32 v19, -v19, v2, v42
	s_delay_alu instid0(VALU_DEP_1) | instskip(SKIP_2) | instid1(VALU_DEP_2)
	v_div_fmas_f32 v19, v19, v39, v2
	v_dual_fma_f32 v2, -v37, v24, v10 :: v_dual_fma_f32 v10, -v15, v38, v32
	s_mov_b32 vcc_lo, s4
	v_div_fixup_f32 v9, v19, v23, v9
	s_delay_alu instid0(VALU_DEP_2) | instskip(SKIP_3) | instid1(VALU_DEP_3)
	v_div_fmas_f32 v24, v2, v40, v24
	v_dual_fma_f32 v2, -v12, v34, v21 :: v_dual_fma_f32 v12, -v25, v20, v35
	v_fmac_f32_e32 v38, v10, v22
	s_mov_b32 vcc_lo, s2
	v_div_fixup_f32 v8, v24, v23, v8
	s_delay_alu instid0(VALU_DEP_3) | instskip(SKIP_3) | instid1(VALU_DEP_3)
	v_div_fmas_f32 v2, v2, v11, v34
	v_dual_fmac_f32 v20, v12, v33 :: v_dual_mov_b32 v10, v3
	v_fma_f32 v3, -v15, v38, v32
	s_mov_b32 vcc_lo, s5
	v_div_fixup_f32 v12, v2, v17, v16
	s_delay_alu instid0(VALU_DEP_3)
	v_fma_f32 v2, -v25, v20, v35
	v_div_fixup_f32 v11, v18, v13, v31
	v_div_fmas_f32 v15, v3, v22, v38
	s_mov_b32 vcc_lo, s6
	v_mov_b32_e32 v31, v23
	v_div_fmas_f32 v16, v2, v33, v20
	v_cmp_lt_f32_e32 vcc_lo, v29, v6
	v_add_f32_e32 v7, v7, v12
	v_pk_add_f32 v[2:3], v[26:27], v[10:11]
	v_div_fixup_f32 v4, v15, v23, v4
	v_div_fixup_f32 v5, v16, v13, v5
	v_cndmask_b32_e32 v29, v29, v6, vcc_lo
	v_div_fixup_f32 v6, v14, v23, v36
	v_cmp_lt_f32_e32 vcc_lo, v1, v28
	v_pk_add_f32 v[14:15], v[8:9], v[2:3]
	v_dual_add_f32 v5, v5, v7 :: v_dual_cndmask_b32 v28, v28, v1
	s_delay_alu instid0(VALU_DEP_1)
	v_dual_add_f32 v30, v30, v6 :: v_dual_add_f32 v34, v4, v5
.LBB9_51:
	s_or_b32 exec_lo, exec_lo, s7
.LBB9_52:
	s_delay_alu instid0(SALU_CYCLE_1)
	s_or_b32 exec_lo, exec_lo, s8
.LBB9_53:
	s_mov_b32 s23, 0
                                        ; implicit-def: $vgpr9
                                        ; implicit-def: $vgpr13
                                        ; implicit-def: $vgpr16_vgpr17
	s_mov_b32 s2, exec_lo
	v_cmpx_eq_u32_e32 0, v0
	s_xor_b32 s7, exec_lo, s2
	s_cbranch_execz .LBB9_57
; %bb.54:
	v_mov_b64_e32 v[16:17], s[20:21]
	s_wait_dscnt 0x3
	v_dual_mov_b32 v9, s15 :: v_dual_mov_b32 v8, s14
	s_wait_dscnt 0x0
	v_dual_mov_b32 v7, s13 :: v_dual_mov_b32 v13, s12
	v_mov_b32_e32 v18, s22
	s_cmp_eq_u64 s[18:19], 0
	s_cbranch_scc1 .LBB9_56
; %bb.55:
	v_mov_b64_e32 v[2:3], s[20:21]
	v_dual_mov_b32 v4, s12 :: v_dual_mov_b32 v5, s20
	v_dual_mov_b32 v6, v14 :: v_dual_mov_b32 v7, v31
	v_dual_mul_f32 v8, s12, v14 :: v_dual_mov_b32 v10, s15
	s_delay_alu instid0(VALU_DEP_4) | instskip(SKIP_2) | instid1(VALU_DEP_4)
	v_pk_add_f32 v[16:17], v[2:3], v[14:15]
	v_mov_b32_e32 v16, s20
	v_pk_mul_f32 v[18:19], v[30:31], v[30:31]
	v_pk_fma_f32 v[6:7], v[4:5], v[6:7], v[8:9] op_sel_hi:[1,1,0] neg_lo:[1,0,0] neg_hi:[1,0,0]
	v_mov_b32_e32 v5, v31
	v_pk_add_f32 v[8:9], v[30:31], v[10:11] neg_lo:[0,1] neg_hi:[0,1]
	v_mov_b32_e32 v13, s12
	v_mov_b64_e32 v[22:23], s[12:13]
	v_cmp_gt_f32_e64 s2, s13, v28
	v_pk_mul_f32 v[10:11], s[12:13], v[4:5] op_sel_hi:[0,1]
	v_pk_mul_f32 v[20:21], v[8:9], v[8:9]
	v_dual_mov_b32 v12, v19 :: v_dual_mov_b32 v30, v19
	s_delay_alu instid0(VALU_DEP_3) | instskip(NEXT) | instid1(VALU_DEP_3)
	v_mov_b32_e32 v6, v11
	v_pk_mul_f32 v[24:25], v[8:9], v[20:21]
	v_sub_f32_e32 v1, s12, v31
	s_delay_alu instid0(VALU_DEP_4) | instskip(NEXT) | instid1(VALU_DEP_4)
	v_pk_mul_f32 v[2:3], v[2:3], v[30:31]
	v_pk_fma_f32 v[26:27], s[12:13], v[4:5], v[6:7] op_sel_hi:[0,1,1] neg_lo:[0,0,1] neg_hi:[0,0,1]
	s_delay_alu instid0(VALU_DEP_4) | instskip(SKIP_2) | instid1(VALU_DEP_3)
	v_dual_mov_b32 v27, v31 :: v_dual_mul_f32 v5, s12, v24
	v_mul_f32_e32 v6, v8, v31
	v_pk_mul_f32 v[24:25], v[8:9], v[24:25]
	v_pk_add_f32 v[12:13], v[12:13], v[26:27]
	s_delay_alu instid0(VALU_DEP_4) | instskip(NEXT) | instid1(VALU_DEP_3)
	v_dual_mov_b32 v26, v31 :: v_dual_mul_f32 v5, v31, v5
	v_pk_mul_f32 v[24:25], v[22:23], v[24:25]
	v_pk_mul_f32 v[22:23], v[22:23], v[20:21]
	s_delay_alu instid0(VALU_DEP_4) | instskip(SKIP_3) | instid1(VALU_DEP_4)
	v_div_scale_f32 v9, null, v13, v13, v6
	v_mov_b32_e32 v27, v13
	v_mul_f32_e32 v1, v1, v5
	v_dual_mov_b32 v25, v13 :: v_dual_mov_b32 v23, v7
	v_rcp_f32_e32 v5, v9
	v_div_scale_f32 v33, vcc_lo, v6, v13, v6
	s_delay_alu instid0(VALU_DEP_2) | instskip(SKIP_3) | instid1(TRANS32_DEP_1)
	v_pk_mul_f32 v[24:25], v[26:27], v[24:25]
	v_mul_f32_e32 v27, 0x40400000, v8
	v_cndmask_b32_e64 v7, s13, v28, s2
	v_add_f32_e32 v28, s22, v34
	v_fma_f32 v11, -v9, v5, 1.0
	s_delay_alu instid0(VALU_DEP_4) | instskip(NEXT) | instid1(VALU_DEP_2)
	v_pk_mul_f32 v[22:23], v[26:27], v[22:23]
	v_fmac_f32_e32 v5, v11, v5
	v_div_scale_f32 v32, null, v25, v25, v1
	v_div_scale_f32 v27, s2, v1, v25, v1
	s_delay_alu instid0(VALU_DEP_4) | instskip(NEXT) | instid1(VALU_DEP_3)
	v_div_scale_f32 v26, null, v13, v13, v23
	v_rcp_f32_e32 v35, v32
	v_div_scale_f32 v34, null, v13, v13, v22
	s_delay_alu instid0(VALU_DEP_2) | instskip(NEXT) | instid1(VALU_DEP_1)
	v_rcp_f32_e32 v30, v26
	v_rcp_f32_e32 v36, v34
	s_delay_alu instid0(TRANS32_DEP_3) | instskip(NEXT) | instid1(VALU_DEP_1)
	v_fma_f32 v18, -v32, v35, 1.0
	v_dual_mul_f32 v11, v33, v5 :: v_dual_fmac_f32 v35, v18, v35
	s_delay_alu instid0(VALU_DEP_1) | instskip(SKIP_1) | instid1(VALU_DEP_2)
	v_fma_f32 v21, -v9, v11, v33
	v_mov_b64_e32 v[18:19], 0x4080000040c00000
	v_dual_mul_f32 v31, v27, v35 :: v_dual_fmac_f32 v11, v21, v5
	s_delay_alu instid0(VALU_DEP_1) | instskip(NEXT) | instid1(VALU_DEP_2)
	v_dual_mov_b32 v21, v8 :: v_dual_fma_f32 v8, -v9, v11, v33
	v_fma_f32 v9, -v32, v31, v27
	v_fma_f32 v33, -v26, v30, 1.0
	s_delay_alu instid0(VALU_DEP_3) | instskip(NEXT) | instid1(VALU_DEP_3)
	v_div_fmas_f32 v5, v8, v5, v11
	v_dual_mov_b32 v11, s12 :: v_dual_fmac_f32 v31, v9, v35
	s_delay_alu instid0(VALU_DEP_3) | instskip(SKIP_1) | instid1(VALU_DEP_4)
	v_fmac_f32_e32 v30, v33, v30
	v_pk_mul_f32 v[8:9], v[12:13], v[24:25]
	v_div_fixup_f32 v6, v5, v13, v6
	s_delay_alu instid0(VALU_DEP_4)
	v_pk_fma_f32 v[4:5], v[10:11], v[14:15], v[2:3] neg_lo:[0,0,1] neg_hi:[0,0,1]
	v_pk_fma_f32 v[2:3], v[10:11], v[14:15], v[2:3]
	v_fma_f32 v27, -v32, v31, v27
	v_div_scale_f32 v32, s3, v23, v13, v23
	v_pk_mul_f32 v[18:19], v[20:21], v[18:19]
	v_mov_b32_e32 v3, v5
	v_div_scale_f32 v10, null, v9, v9, v8
	s_delay_alu instid0(VALU_DEP_4) | instskip(SKIP_1) | instid1(VALU_DEP_4)
	v_mul_f32_e32 v5, v32, v30
	v_fma_f32 v4, -v34, v36, 1.0
	v_pk_mul_f32 v[2:3], v[18:19], v[2:3]
	s_delay_alu instid0(VALU_DEP_4) | instskip(SKIP_2) | instid1(VALU_DEP_2)
	v_rcp_f32_e32 v11, v10
	s_mov_b32 vcc_lo, s2
	v_div_fmas_f32 v15, v27, v35, v31
	v_div_scale_f32 v12, null, v25, v25, v2
	v_div_scale_f32 v24, null, v13, v13, v3
	s_delay_alu instid0(TRANS32_DEP_1) | instskip(NEXT) | instid1(VALU_DEP_3)
	v_fma_f32 v19, -v10, v11, 1.0
	v_rcp_f32_e32 v20, v12
	v_fmac_f32_e32 v36, v4, v36
	v_div_scale_f32 v4, s4, v22, v13, v22
	v_rcp_f32_e32 v31, v24
	v_dual_fmac_f32 v11, v19, v11 :: v_dual_fma_f32 v18, -v26, v5, v32
	s_delay_alu instid0(VALU_DEP_2) | instskip(SKIP_2) | instid1(VALU_DEP_4)
	v_mul_f32_e32 v21, v4, v36
	v_div_scale_f32 v19, s2, v8, v9, v8
	v_fma_f32 v27, -v12, v20, 1.0
	v_fmac_f32_e32 v5, v18, v30
	s_delay_alu instid0(TRANS32_DEP_1) | instskip(NEXT) | instid1(VALU_DEP_4)
	v_fma_f32 v35, -v24, v31, 1.0
	v_mul_f32_e32 v33, v19, v11
	s_mov_b32 vcc_lo, s3
	v_fmac_f32_e32 v20, v27, v20
	v_div_scale_f32 v27, s5, v2, v25, v2
	v_fma_f32 v18, -v34, v21, v4
	v_dual_fma_f32 v26, -v26, v5, v32 :: v_dual_fmac_f32 v31, v35, v31
	s_delay_alu instid0(VALU_DEP_3) | instskip(SKIP_1) | instid1(VALU_DEP_4)
	v_mul_f32_e32 v32, v27, v20
	v_div_scale_f32 v35, s6, v3, v13, v3
	v_fmac_f32_e32 v21, v18, v36
	v_fma_f32 v18, -v10, v33, v19
	v_div_fmas_f32 v26, v26, v30, v5
	v_fma_f32 v5, -v12, v32, v27
	s_mov_b32 vcc_lo, s4
	s_delay_alu instid0(VALU_DEP_3) | instskip(SKIP_1) | instid1(VALU_DEP_3)
	v_fmac_f32_e32 v33, v18, v11
	v_dual_mul_f32 v18, v35, v31 :: v_dual_fma_f32 v4, -v34, v21, v4
	v_fmac_f32_e32 v32, v5, v20
	v_div_fixup_f32 v5, v15, v25, v1
	s_delay_alu instid0(VALU_DEP_3) | instskip(SKIP_4) | instid1(VALU_DEP_3)
	v_div_fmas_f32 v21, v4, v36, v21
	v_fma_f32 v4, -v10, v33, v19
	v_fma_f32 v10, -v24, v18, v35
	s_mov_b32 vcc_lo, s2
	v_fma_f32 v1, -v12, v32, v27
	v_div_fmas_f32 v11, v4, v11, v33
	s_delay_alu instid0(VALU_DEP_3)
	v_fmac_f32_e32 v18, v10, v31
	s_mov_b32 vcc_lo, s5
	v_mov_b32_e32 v4, v14
	v_div_fmas_f32 v1, v1, v20, v32
	v_div_fixup_f32 v8, v11, v9, v8
	v_fma_f32 v9, -v24, v18, v35
	s_mov_b32 vcc_lo, s6
	v_pk_add_f32 v[4:5], v[16:17], v[4:5]
	v_div_fixup_f32 v1, v1, v25, v2
	v_add_f32_e32 v8, v28, v8
	v_div_fmas_f32 v9, v9, v31, v18
	v_div_fixup_f32 v11, v26, v13, v23
	v_div_fixup_f32 v10, v21, v13, v22
	v_cmp_lt_f32_e32 vcc_lo, s14, v29
	s_delay_alu instid0(VALU_DEP_4) | instskip(SKIP_3) | instid1(VALU_DEP_3)
	v_div_fixup_f32 v2, v9, v13, v3
	v_dual_add_f32 v9, s15, v6 :: v_dual_add_f32 v1, v1, v8
	v_cndmask_b32_e32 v8, s14, v29, vcc_lo
	v_pk_add_f32 v[16:17], v[4:5], v[10:11]
	v_add_f32_e32 v18, v2, v1
.LBB9_56:
	s_mov_b32 s23, exec_lo
.LBB9_57:
	s_or_b32 exec_lo, exec_lo, s7
	s_delay_alu instid0(SALU_CYCLE_1)
	s_and_b32 vcc_lo, exec_lo, s26
	s_cbranch_vccnz .LBB9_12
.LBB9_58:
	s_branch .LBB9_98
.LBB9_59:
                                        ; implicit-def: $vgpr14_vgpr15
                                        ; implicit-def: $vgpr4_vgpr5
                                        ; implicit-def: $vgpr10_vgpr11
	s_cbranch_execz .LBB9_85
; %bb.60:
	s_sub_co_i32 s8, s18, s24
	s_mov_b32 s2, exec_lo
                                        ; implicit-def: $vgpr2
                                        ; implicit-def: $vgpr10_vgpr11
                                        ; implicit-def: $vgpr14_vgpr15
	v_cmpx_gt_u32_e64 s8, v0
	s_cbranch_execz .LBB9_62
; %bb.61:
	s_wait_dscnt 0x1
	s_clause 0x1
	global_load_b128 v[2:5], v[18:19], off
	global_load_b96 v[10:12], v[18:19], off offset:16
	s_wait_loadcnt 0x1
	v_dual_mov_b32 v14, v3 :: v_dual_mov_b32 v15, v4
	s_wait_loadcnt 0x0
	v_mov_b32_e32 v4, v12
.LBB9_62:
	s_or_b32 exec_lo, exec_lo, s2
	s_wait_dscnt 0x5
	v_or_b32_e32 v1, 0x100, v0
	s_mov_b32 s24, exec_lo
	s_delay_alu instid0(VALU_DEP_1)
	v_cmpx_gt_u32_e64 s8, v1
	s_cbranch_execz .LBB9_64
; %bb.63:
	s_wait_dscnt 0x0
	s_clause 0x1
	global_load_b128 v[6:9], v[18:19], off offset:7168
	global_load_b96 v[20:22], v[18:19], off offset:7184
	v_dual_mov_b32 v13, v2 :: v_dual_mov_b32 v16, 0x40c00000
	s_wait_loadcnt 0x1
	v_cmp_lt_f32_e32 vcc_lo, v15, v8
	v_dual_mov_b32 v3, v6 :: v_dual_mov_b32 v23, v6
	s_wait_loadcnt 0x0
	v_add_f32_e32 v36, v4, v22
	v_mul_f32_e32 v4, v11, v6
	v_dual_cndmask_b32 v15, v15, v8 :: v_dual_mul_f32 v8, v2, v21
	v_cmp_lt_f32_e32 vcc_lo, v7, v14
	v_pk_mul_f32 v[24:25], v[2:3], v[2:3] op_sel_hi:[0,1]
	v_dual_mov_b32 v27, v20 :: v_dual_add_f32 v19, v11, v21
	s_delay_alu instid0(VALU_DEP_4) | instskip(SKIP_3) | instid1(VALU_DEP_4)
	v_pk_add_f32 v[8:9], v[8:9], v[4:5] neg_lo:[0,1] neg_hi:[0,1]
	v_cndmask_b32_e32 v14, v14, v7, vcc_lo
	v_mul_f32_e32 v7, v10, v6
	v_dual_mul_f32 v4, v6, v6 :: v_dual_mov_b32 v1, v24
	v_dual_mov_b32 v12, v9 :: v_dual_mov_b32 v26, v9
	v_sub_f32_e32 v28, v2, v6
	v_dual_mov_b32 v21, v6 :: v_dual_mul_f32 v22, 4.0, v9
	s_delay_alu instid0(VALU_DEP_4) | instskip(NEXT) | instid1(VALU_DEP_4)
	v_pk_fma_f32 v[34:35], v[2:3], v[2:3], v[0:1] op_sel_hi:[0,1,1] neg_lo:[1,0,0] neg_hi:[1,0,0]
	v_pk_mul_f32 v[30:31], v[12:13], v[26:27]
	v_mov_b32_e32 v3, v7
	v_pk_mul_f32 v[32:33], v[10:11], v[4:5] op_sel_hi:[1,0]
	v_mov_b32_e32 v25, v6
	v_mul_f32_e32 v7, 0x40400000, v9
	v_mul_f32_e32 v1, v9, v30
	v_pk_fma_f32 v[12:13], v[12:13], v[26:27], v[2:3] neg_lo:[0,0,1] neg_hi:[0,0,1]
	v_pk_mul_f32 v[22:23], v[22:23], v[8:9]
	s_delay_alu instid0(VALU_DEP_3) | instskip(SKIP_1) | instid1(VALU_DEP_4)
	v_dual_mov_b32 v33, v35 :: v_dual_mul_f32 v4, v9, v1
	v_pk_mul_f32 v[8:9], v[30:31], v[2:3]
	v_dual_mov_b32 v9, v13 :: v_dual_mul_f32 v1, v2, v1
	v_mov_b32_e32 v31, v6
	s_delay_alu instid0(VALU_DEP_4) | instskip(SKIP_1) | instid1(VALU_DEP_4)
	v_dual_mul_f32 v17, v2, v4 :: v_dual_add_f32 v2, v2, v6
	v_pk_fma_f32 v[12:13], v[24:25], v[20:21], v[32:33]
	v_mul_f32_e32 v24, v6, v1
	v_pk_mul_f32 v[6:7], v[6:7], v[8:9]
	s_delay_alu instid0(VALU_DEP_4) | instskip(SKIP_3) | instid1(VALU_DEP_4)
	v_div_scale_f32 v1, null, v2, v2, v23
	v_mov_b32_e32 v29, v2
	v_pk_mul_f32 v[8:9], v[30:31], v[16:17]
	v_div_scale_f32 v4, null, v2, v2, v22
	v_rcp_f32_e32 v30, v1
	v_div_scale_f32 v18, null, v2, v2, v7
	v_div_scale_f32 v26, null, v2, v2, v6
	v_div_scale_f32 v3, vcc_lo, v23, v2, v23
	s_delay_alu instid0(TRANS32_DEP_1) | instskip(SKIP_3) | instid1(VALU_DEP_4)
	v_fma_f32 v33, -v1, v30, 1.0
	v_mov_b32_e32 v25, v2
	v_pk_mul_f32 v[8:9], v[8:9], v[12:13]
	v_div_scale_f32 v11, s2, v22, v2, v22
	v_fmac_f32_e32 v30, v33, v30
	s_delay_alu instid0(VALU_DEP_4)
	v_pk_mul_f32 v[16:17], v[28:29], v[24:25]
	v_rcp_f32_e32 v24, v4
	v_rcp_f32_e32 v25, v18
	;; [unrolled: 1-line block ×3, first 2 shown]
	v_div_scale_f32 v21, s3, v7, v2, v7
	v_pk_mul_f32 v[12:13], v[2:3], v[16:17] op_sel_hi:[0,1]
	v_div_scale_f32 v12, null, v17, v17, v16
	v_div_scale_f32 v31, null, v17, v17, v8
	v_fma_f32 v34, -v4, v24, 1.0
	v_fma_f32 v35, -v18, v25, 1.0
	;; [unrolled: 1-line block ×3, first 2 shown]
	v_rcp_f32_e32 v38, v12
	v_rcp_f32_e32 v39, v31
	v_div_scale_f32 v40, null, v13, v13, v9
	v_div_scale_f32 v27, s4, v6, v2, v6
	v_dual_fmac_f32 v24, v34, v24 :: v_dual_fmac_f32 v25, v35, v25
	v_dual_fmac_f32 v28, v37, v28 :: v_dual_mul_f32 v34, v3, v30
	s_delay_alu instid0(VALU_DEP_4) | instskip(NEXT) | instid1(VALU_DEP_2)
	v_rcp_f32_e32 v33, v40
	v_dual_mul_f32 v35, v11, v24 :: v_dual_mul_f32 v37, v21, v25
	s_delay_alu instid0(VALU_DEP_2)
	v_dual_mul_f32 v42, v27, v28 :: v_dual_fma_f32 v45, -v1, v34, v3
	v_fma_f32 v43, -v12, v38, 1.0
	v_fma_f32 v44, -v31, v39, 1.0
	v_div_scale_f32 v29, s5, v16, v17, v16
	v_div_scale_f32 v32, s6, v8, v17, v8
	v_dual_fma_f32 v46, -v4, v35, v11 :: v_dual_fma_f32 v47, -v18, v37, v21
	v_fma_f32 v48, -v26, v42, v27
	v_dual_fmac_f32 v38, v43, v38 :: v_dual_fmac_f32 v39, v44, v39
	v_fma_f32 v43, -v40, v33, 1.0
	v_div_scale_f32 v41, s7, v9, v13, v9
	v_dual_fmac_f32 v34, v45, v30 :: v_dual_fmac_f32 v35, v46, v24
	v_dual_fmac_f32 v37, v47, v25 :: v_dual_fmac_f32 v42, v48, v28
	v_dual_mul_f32 v44, v29, v38 :: v_dual_mul_f32 v45, v32, v39
	s_delay_alu instid0(VALU_DEP_3) | instskip(NEXT) | instid1(VALU_DEP_3)
	v_dual_fmac_f32 v33, v43, v33 :: v_dual_fma_f32 v1, -v1, v34, v3
	v_dual_fma_f32 v3, -v4, v35, v11 :: v_dual_fma_f32 v4, -v18, v37, v21
	s_delay_alu instid0(VALU_DEP_3) | instskip(NEXT) | instid1(VALU_DEP_3)
	v_dual_fma_f32 v11, -v26, v42, v27 :: v_dual_fma_f32 v18, -v12, v44, v29
	v_mul_f32_e32 v26, v41, v33
	v_fma_f32 v21, -v31, v45, v32
	v_div_fmas_f32 v1, v1, v30, v34
	s_mov_b32 vcc_lo, s2
	v_fmac_f32_e32 v44, v18, v38
	v_fma_f32 v18, -v40, v26, v41
	v_fmac_f32_e32 v45, v21, v39
	v_div_fmas_f32 v3, v3, v24, v35
	s_mov_b32 vcc_lo, s3
	s_delay_alu instid0(VALU_DEP_3)
	v_dual_fma_f32 v12, -v12, v44, v29 :: v_dual_fmac_f32 v26, v18, v33
	v_div_fmas_f32 v4, v4, v25, v37
	s_mov_b32 vcc_lo, s4
	v_fma_f32 v21, -v31, v45, v32
	v_div_fmas_f32 v11, v11, v28, v42
	s_mov_b32 vcc_lo, s5
	v_fma_f32 v18, -v40, v26, v41
	v_div_fmas_f32 v12, v12, v38, v44
	s_mov_b32 vcc_lo, s6
	v_div_fixup_f32 v7, v4, v2, v7
	v_div_fmas_f32 v24, v21, v39, v45
	s_mov_b32 vcc_lo, s7
	v_div_fixup_f32 v21, v12, v17, v16
	v_div_fmas_f32 v18, v18, v33, v26
	v_div_fixup_f32 v6, v11, v2, v6
	s_delay_alu instid0(VALU_DEP_2)
	v_div_fixup_f32 v13, v18, v13, v9
	v_mov_b32_e32 v18, v10
	v_div_fixup_f32 v9, v1, v2, v23
	v_div_fixup_f32 v1, v24, v17, v8
	;; [unrolled: 1-line block ×3, first 2 shown]
	v_add_f32_e32 v12, v36, v13
	v_pk_add_f32 v[10:11], v[18:19], v[20:21]
	s_delay_alu instid0(VALU_DEP_2) | instskip(NEXT) | instid1(VALU_DEP_2)
	v_add_f32_e32 v4, v1, v12
	v_pk_add_f32 v[10:11], v[6:7], v[10:11]
	s_delay_alu instid0(VALU_DEP_2)
	v_pk_add_f32 v[4:5], v[4:5], v[8:9]
.LBB9_64:
	s_or_b32 exec_lo, exec_lo, s24
	v_mbcnt_lo_u32_b32 v1, -1, 0
	v_and_b32_e32 v12, 0xe0, v0
	s_min_u32 s6, s8, 0x100
	s_mov_b32 s2, exec_lo
	s_delay_alu instid0(VALU_DEP_2) | instskip(NEXT) | instid1(VALU_DEP_2)
	v_cmp_ne_u32_e32 vcc_lo, 31, v1
	v_sub_nc_u32_e64 v12, s6, v12 clamp
	v_add_nc_u32_e32 v17, 1, v1
	s_wait_dscnt 0x2
	v_add_co_ci_u32_e64 v3, null, 0, v1, vcc_lo
	s_delay_alu instid0(VALU_DEP_1)
	v_lshlrev_b32_e32 v8, 2, v3
	s_wait_dscnt 0x0
	ds_bpermute_b32 v7, v8, v2
	ds_bpermute_b32 v13, v8, v14
	;; [unrolled: 1-line block ×7, first 2 shown]
	v_cmpx_lt_u32_e64 v17, v12
	s_xor_b32 s7, exec_lo, s2
	s_cbranch_execz .LBB9_66
; %bb.65:
	s_wait_dscnt 0x2
	v_pk_mul_f32 v[18:19], v[10:11], v[6:7]
	s_wait_dscnt 0x0
	v_dual_add_f32 v36, v4, v8 :: v_dual_mul_f32 v8, v2, v3
	v_dual_add_f32 v21, v11, v3 :: v_dual_mov_b32 v23, v2
	s_delay_alu instid0(VALU_DEP_3) | instskip(SKIP_2) | instid1(VALU_DEP_3)
	v_dual_mov_b32 v4, v19 :: v_dual_add_f32 v19, v2, v7
	v_dual_mov_b32 v3, v7 :: v_dual_mov_b32 v25, v6
	v_sub_f32_e32 v18, v2, v7
	v_pk_add_f32 v[8:9], v[8:9], v[4:5] neg_lo:[0,1] neg_hi:[0,1]
	v_mul_f32_e32 v4, v7, v7
	s_delay_alu instid0(VALU_DEP_4) | instskip(SKIP_1) | instid1(VALU_DEP_4)
	v_pk_mul_f32 v[26:27], v[2:3], v[2:3] op_sel_hi:[0,1]
	v_dual_mov_b32 v17, v10 :: v_dual_mov_b32 v27, v7
	v_dual_mov_b32 v22, v9 :: v_dual_mov_b32 v24, v9
	s_delay_alu instid0(VALU_DEP_4) | instskip(NEXT) | instid1(VALU_DEP_2)
	v_pk_mul_f32 v[28:29], v[10:11], v[4:5] op_sel_hi:[1,0]
	v_pk_mul_f32 v[22:23], v[22:23], v[24:25]
	v_dual_mov_b32 v25, v26 :: v_dual_mov_b32 v24, v7
	s_delay_alu instid0(VALU_DEP_2) | instskip(SKIP_1) | instid1(VALU_DEP_3)
	v_pk_fma_f32 v[30:31], v[16:17], v[6:7], v[22:23] neg_lo:[1,0,0] neg_hi:[1,0,0]
	v_mov_b32_e32 v30, v6
	v_pk_fma_f32 v[32:33], v[2:3], v[2:3], v[24:25] op_sel_hi:[0,1,1] neg_lo:[1,0,0] neg_hi:[1,0,0]
	v_mul_f32_e32 v3, v9, v22
	v_mul_f32_e32 v25, 0x40400000, v9
	s_delay_alu instid0(VALU_DEP_2) | instskip(NEXT) | instid1(VALU_DEP_4)
	v_pk_mul_f32 v[34:35], v[22:23], v[2:3]
	v_dual_mov_b32 v35, v31 :: v_dual_mov_b32 v29, v33
	v_dual_mul_f32 v4, v2, v3 :: v_dual_mov_b32 v33, v19
	v_mul_f32_e32 v3, v9, v3
	s_delay_alu instid0(VALU_DEP_3) | instskip(NEXT) | instid1(VALU_DEP_4)
	v_pk_mul_f32 v[24:25], v[34:35], v[24:25]
	v_pk_fma_f32 v[26:27], v[26:27], v[6:7], v[28:29]
	s_delay_alu instid0(VALU_DEP_4) | instskip(NEXT) | instid1(VALU_DEP_4)
	v_mul_f32_e32 v32, v4, v7
	v_dual_mov_b32 v6, 0x40c00000 :: v_dual_mul_f32 v23, v2, v3
	s_delay_alu instid0(VALU_DEP_4) | instskip(SKIP_1) | instid1(VALU_DEP_3)
	v_div_scale_f32 v4, null, v19, v19, v25
	v_div_scale_f32 v11, null, v19, v19, v24
	v_pk_mul_f32 v[22:23], v[22:23], v[6:7]
	s_delay_alu instid0(VALU_DEP_3) | instskip(SKIP_2) | instid1(VALU_DEP_3)
	v_rcp_f32_e32 v17, v4
	v_div_scale_f32 v20, vcc_lo, v25, v19, v25
	v_div_scale_f32 v31, s2, v24, v19, v24
	v_pk_mul_f32 v[22:23], v[22:23], v[26:27]
	s_delay_alu instid0(TRANS32_DEP_1) | instskip(NEXT) | instid1(VALU_DEP_1)
	v_fma_f32 v6, -v4, v17, 1.0
	v_fmac_f32_e32 v17, v6, v17
	v_pk_mul_f32 v[2:3], v[18:19], v[32:33]
	v_rcp_f32_e32 v18, v11
	v_mul_f32_e32 v6, 4.0, v9
	s_delay_alu instid0(VALU_DEP_2) | instskip(SKIP_1) | instid1(TRANS32_DEP_1)
	v_div_scale_f32 v28, null, v3, v3, v2
	v_div_scale_f32 v27, null, v3, v3, v22
	v_fma_f32 v29, -v11, v18, 1.0
	s_delay_alu instid0(VALU_DEP_3) | instskip(SKIP_1) | instid1(VALU_DEP_3)
	v_rcp_f32_e32 v26, v28
	v_div_scale_f32 v39, s3, v2, v3, v2
	v_rcp_f32_e32 v34, v27
	s_delay_alu instid0(VALU_DEP_2) | instskip(SKIP_1) | instid1(TRANS32_DEP_2)
	v_dual_fmac_f32 v18, v29, v18 :: v_dual_mul_f32 v29, v20, v17
	v_pk_mul_f32 v[6:7], v[8:9], v[6:7]
	v_fma_f32 v35, -v28, v26, 1.0
	v_div_scale_f32 v8, s4, v22, v3, v22
	s_delay_alu instid0(VALU_DEP_4) | instskip(SKIP_1) | instid1(VALU_DEP_1)
	v_mul_f32_e32 v32, v31, v18
	v_dual_mul_f32 v33, v19, v3 :: v_dual_fma_f32 v37, -v4, v29, v20
	v_dual_fma_f32 v38, -v11, v32, v31 :: v_dual_fmac_f32 v29, v37, v17
	s_delay_alu instid0(VALU_DEP_2) | instskip(SKIP_2) | instid1(VALU_DEP_4)
	v_div_scale_f32 v37, null, v33, v33, v23
	v_fmac_f32_e32 v26, v35, v26
	v_fma_f32 v35, -v27, v34, 1.0
	v_fma_f32 v4, -v4, v29, v20
	s_delay_alu instid0(VALU_DEP_4) | instskip(NEXT) | instid1(VALU_DEP_1)
	v_rcp_f32_e32 v20, v37
	v_div_fmas_f32 v4, v4, v17, v29
	s_mov_b32 vcc_lo, s2
	v_div_scale_f32 v17, null, v19, v19, v7
	s_delay_alu instid0(TRANS32_DEP_1) | instskip(SKIP_2) | instid1(VALU_DEP_3)
	v_fma_f32 v9, -v37, v20, 1.0
	v_fmac_f32_e32 v34, v35, v34
	v_div_scale_f32 v35, null, v19, v19, v6
	v_fmac_f32_e32 v20, v9, v20
	v_div_scale_f32 v9, s2, v23, v33, v23
	v_fmac_f32_e32 v32, v38, v18
	v_mul_f32_e32 v29, v8, v34
	v_rcp_f32_e32 v41, v35
	s_delay_alu instid0(VALU_DEP_2) | instskip(SKIP_1) | instid1(VALU_DEP_2)
	v_fma_f32 v11, -v11, v32, v31
	v_dual_mul_f32 v31, v9, v20 :: v_dual_mul_f32 v38, v39, v26
	v_div_fmas_f32 v11, v11, v18, v32
	v_rcp_f32_e32 v32, v17
	s_delay_alu instid0(VALU_DEP_2) | instskip(SKIP_1) | instid1(VALU_DEP_1)
	v_fma_f32 v18, -v28, v38, v39
	s_mov_b32 vcc_lo, s3
	v_dual_fmac_f32 v38, v18, v26 :: v_dual_fma_f32 v18, -v27, v29, v8
	s_delay_alu instid0(TRANS32_DEP_1) | instskip(NEXT) | instid1(VALU_DEP_2)
	v_fma_f32 v40, -v17, v32, 1.0
	v_fma_f32 v28, -v28, v38, v39
	s_delay_alu instid0(VALU_DEP_2) | instskip(SKIP_3) | instid1(VALU_DEP_3)
	v_dual_fmac_f32 v29, v18, v34 :: v_dual_fmac_f32 v32, v40, v32
	v_fma_f32 v18, -v37, v31, v9
	v_div_scale_f32 v39, s5, v7, v19, v7
	v_fma_f32 v40, -v35, v41, 1.0
	v_dual_fma_f32 v8, -v27, v29, v8 :: v_dual_fmac_f32 v31, v18, v20
	s_delay_alu instid0(VALU_DEP_3) | instskip(SKIP_1) | instid1(VALU_DEP_4)
	v_mul_f32_e32 v18, v39, v32
	v_div_scale_f32 v27, s3, v6, v19, v6
	v_fmac_f32_e32 v41, v40, v41
	v_div_fmas_f32 v26, v28, v26, v38
	v_fma_f32 v9, -v37, v31, v9
	s_mov_b32 vcc_lo, s4
	s_delay_alu instid0(VALU_DEP_3) | instskip(SKIP_3) | instid1(VALU_DEP_3)
	v_mul_f32_e32 v28, v27, v41
	v_div_fmas_f32 v8, v8, v34, v29
	v_fma_f32 v29, -v17, v18, v39
	s_mov_b32 vcc_lo, s2
	v_fma_f32 v34, -v35, v28, v27
	v_div_fmas_f32 v31, v9, v20, v31
	s_delay_alu instid0(VALU_DEP_3) | instskip(SKIP_1) | instid1(VALU_DEP_4)
	v_dual_mov_b32 v20, v10 :: v_dual_fmac_f32 v18, v29, v32
	v_div_fixup_f32 v9, v4, v19, v25
	v_fmac_f32_e32 v28, v34, v41
	s_delay_alu instid0(VALU_DEP_4)
	v_div_fixup_f32 v4, v31, v33, v23
	v_div_fixup_f32 v31, v26, v3, v2
	v_fma_f32 v2, -v17, v18, v39
	v_div_fixup_f32 v10, v8, v3, v22
	v_fma_f32 v3, -v35, v28, v27
	s_mov_b32 vcc_lo, s5
	v_add_f32_e32 v4, v36, v4
	v_div_fmas_f32 v17, v2, v32, v18
	s_mov_b32 vcc_lo, s3
	v_div_fixup_f32 v8, v11, v19, v24
	v_div_fmas_f32 v18, v3, v41, v28
	v_cmp_lt_f32_e32 vcc_lo, v15, v16
	v_pk_add_f32 v[2:3], v[20:21], v[30:31]
	v_add_f32_e32 v4, v10, v4
	v_div_fixup_f32 v7, v17, v19, v7
	v_div_fixup_f32 v6, v18, v19, v6
	v_cndmask_b32_e32 v15, v15, v16, vcc_lo
	v_cmp_lt_f32_e32 vcc_lo, v13, v14
	v_pk_add_f32 v[10:11], v[8:9], v[2:3]
	v_mov_b32_e32 v2, v19
	v_pk_add_f32 v[4:5], v[4:5], v[6:7]
	v_cndmask_b32_e32 v14, v14, v13, vcc_lo
.LBB9_66:
	s_or_b32 exec_lo, exec_lo, s7
	v_cmp_gt_u32_e32 vcc_lo, 30, v1
	s_mov_b32 s7, exec_lo
	s_wait_dscnt 0x1
	v_cndmask_b32_e64 v3, 0, 2, vcc_lo
	s_delay_alu instid0(VALU_DEP_1)
	v_add_lshl_u32 v3, v3, v1, 2
	ds_bpermute_b32 v7, v3, v2
	ds_bpermute_b32 v13, v3, v14
	ds_bpermute_b32 v16, v3, v15
	ds_bpermute_b32 v9, v3, v5
	ds_bpermute_b32 v6, v3, v10
	ds_bpermute_b32 v17, v3, v11
	s_wait_dscnt 0x6
	ds_bpermute_b32 v8, v3, v4
	v_add_nc_u32_e32 v3, 2, v1
	s_delay_alu instid0(VALU_DEP_1)
	v_cmpx_lt_u32_e64 v3, v12
	s_cbranch_execz .LBB9_68
; %bb.67:
	s_wait_dscnt 0x2
	v_pk_mul_f32 v[20:21], v[10:11], v[6:7]
	s_wait_dscnt 0x0
	v_dual_mov_b32 v3, v10 :: v_dual_add_f32 v34, v4, v8
	v_dual_mul_f32 v18, v2, v6 :: v_dual_mul_f32 v8, v2, v17
	s_delay_alu instid0(VALU_DEP_3) | instskip(SKIP_1) | instid1(VALU_DEP_3)
	v_dual_mov_b32 v4, v21 :: v_dual_add_f32 v23, v2, v7
	v_add_f32_e32 v25, v11, v17
	v_pk_fma_f32 v[18:19], v[2:3], v[6:7], v[18:19] op_sel_hi:[1,1,0] neg_lo:[1,0,0] neg_hi:[1,0,0]
	v_mov_b32_e32 v3, v7
	s_delay_alu instid0(VALU_DEP_4) | instskip(SKIP_2) | instid1(VALU_DEP_4)
	v_pk_add_f32 v[8:9], v[8:9], v[4:5] neg_lo:[0,1] neg_hi:[0,1]
	v_dual_mov_b32 v24, v10 :: v_dual_mul_f32 v4, v7, v7
	v_mov_b32_e32 v18, v7
	v_pk_mul_f32 v[20:21], v[2:3], v[2:3] op_sel_hi:[0,1]
	s_delay_alu instid0(VALU_DEP_4) | instskip(SKIP_1) | instid1(VALU_DEP_3)
	v_pk_mul_f32 v[26:27], v[8:9], v[8:9]
	v_dual_sub_f32 v22, v2, v7 :: v_dual_mov_b32 v29, 0x40400000
	v_dual_mov_b32 v26, v6 :: v_dual_mov_b32 v17, v20
	s_delay_alu instid0(VALU_DEP_3) | instskip(SKIP_2) | instid1(VALU_DEP_4)
	v_dual_mul_f32 v35, v9, v27 :: v_dual_mov_b32 v28, v27
	v_pk_mul_f32 v[10:11], v[10:11], v[4:5] op_sel_hi:[1,0]
	v_mov_b32_e32 v33, v23
	v_pk_fma_f32 v[30:31], v[2:3], v[2:3], v[16:17] op_sel_hi:[0,1,1] neg_lo:[1,0,0] neg_hi:[1,0,0]
	s_delay_alu instid0(VALU_DEP_4) | instskip(SKIP_1) | instid1(VALU_DEP_3)
	v_dual_mov_b32 v3, v9 :: v_dual_mul_f32 v17, v2, v35
	v_dual_mov_b32 v30, v27 :: v_dual_mov_b32 v21, v7
	v_mov_b32_e32 v11, v31
	s_delay_alu instid0(VALU_DEP_3) | instskip(NEXT) | instid1(VALU_DEP_4)
	v_pk_mul_f32 v[28:29], v[2:3], v[28:29]
	v_mul_f32_e32 v32, v17, v7
	v_mul_f32_e32 v3, v9, v35
	s_delay_alu instid0(VALU_DEP_4) | instskip(NEXT) | instid1(VALU_DEP_4)
	v_pk_fma_f32 v[10:11], v[20:21], v[6:7], v[10:11]
	v_pk_mul_f32 v[18:19], v[28:29], v[18:19]
	s_delay_alu instid0(VALU_DEP_4) | instskip(NEXT) | instid1(VALU_DEP_4)
	v_pk_mul_f32 v[28:29], v[22:23], v[32:33]
	v_dual_mov_b32 v6, 0x40c00000 :: v_dual_mul_f32 v31, v2, v3
	s_delay_alu instid0(VALU_DEP_3) | instskip(NEXT) | instid1(VALU_DEP_3)
	v_div_scale_f32 v4, null, v23, v23, v19
	v_div_scale_f32 v17, null, v29, v29, v28
	s_delay_alu instid0(VALU_DEP_3) | instskip(NEXT) | instid1(VALU_DEP_3)
	v_pk_mul_f32 v[2:3], v[30:31], v[6:7]
	v_rcp_f32_e32 v20, v4
	v_div_scale_f32 v27, null, v23, v23, v18
	s_delay_alu instid0(VALU_DEP_3) | instskip(SKIP_2) | instid1(TRANS32_DEP_2)
	v_rcp_f32_e32 v21, v17
	v_div_scale_f32 v22, s2, v19, v23, v19
	v_div_scale_f32 v31, vcc_lo, v28, v29, v28
	v_fma_f32 v6, -v4, v20, 1.0
	v_pk_mul_f32 v[2:3], v[2:3], v[10:11]
	s_delay_alu instid0(TRANS32_DEP_1) | instskip(SKIP_1) | instid1(VALU_DEP_2)
	v_fma_f32 v30, -v17, v21, 1.0
	v_rcp_f32_e32 v10, v27
	v_div_scale_f32 v11, null, v29, v29, v2
	s_delay_alu instid0(VALU_DEP_2) | instskip(SKIP_1) | instid1(TRANS32_DEP_1)
	v_fmac_f32_e32 v21, v30, v21
	v_fmac_f32_e32 v20, v6, v20
	v_fma_f32 v36, -v27, v10, 1.0
	v_mul_f32_e32 v39, v23, v29
	v_div_scale_f32 v30, s3, v18, v23, v18
	s_delay_alu instid0(VALU_DEP_4) | instskip(NEXT) | instid1(VALU_DEP_4)
	v_dual_mul_f32 v33, v31, v21 :: v_dual_mul_f32 v32, v22, v20
	v_fmac_f32_e32 v10, v36, v10
	v_rcp_f32_e32 v35, v11
	v_mul_f32_e32 v6, 4.0, v9
	s_delay_alu instid0(VALU_DEP_3) | instskip(NEXT) | instid1(VALU_DEP_2)
	v_dual_fma_f32 v38, -v17, v33, v31 :: v_dual_fma_f32 v37, -v4, v32, v22
	v_pk_mul_f32 v[6:7], v[8:9], v[6:7]
	s_delay_alu instid0(VALU_DEP_2) | instskip(SKIP_3) | instid1(VALU_DEP_4)
	v_dual_fmac_f32 v33, v38, v21 :: v_dual_fmac_f32 v32, v37, v20
	v_div_scale_f32 v37, null, v39, v39, v3
	v_mul_f32_e32 v38, v30, v10
	v_fma_f32 v36, -v11, v35, 1.0
	v_fma_f32 v4, -v4, v32, v22
	s_delay_alu instid0(VALU_DEP_4) | instskip(SKIP_2) | instid1(VALU_DEP_2)
	v_rcp_f32_e32 v22, v37
	v_fma_f32 v17, -v17, v33, v31
	v_div_scale_f32 v9, s4, v2, v29, v2
	v_div_fmas_f32 v8, v17, v21, v33
	s_delay_alu instid0(TRANS32_DEP_1) | instskip(SKIP_3) | instid1(VALU_DEP_3)
	v_fma_f32 v17, -v37, v22, 1.0
	v_div_scale_f32 v21, null, v23, v23, v7
	v_fmac_f32_e32 v35, v36, v35
	s_mov_b32 vcc_lo, s2
	v_fmac_f32_e32 v22, v17, v22
	s_delay_alu instid0(VALU_DEP_3) | instskip(SKIP_4) | instid1(VALU_DEP_3)
	v_rcp_f32_e32 v17, v21
	v_div_fmas_f32 v4, v4, v20, v32
	v_dual_fma_f32 v20, -v27, v38, v30 :: v_dual_mul_f32 v31, v9, v35
	v_div_scale_f32 v32, s2, v3, v39, v3
	v_div_scale_f32 v33, null, v23, v23, v6
	v_dual_fmac_f32 v38, v20, v10 :: v_dual_fma_f32 v20, -v11, v31, v9
	s_delay_alu instid0(VALU_DEP_3) | instskip(SKIP_1) | instid1(VALU_DEP_4)
	v_mul_f32_e32 v36, v32, v22
	v_fma_f32 v40, -v21, v17, 1.0
	v_rcp_f32_e32 v41, v33
	s_delay_alu instid0(VALU_DEP_3) | instskip(NEXT) | instid1(VALU_DEP_2)
	v_dual_fma_f32 v27, -v27, v38, v30 :: v_dual_fmac_f32 v31, v20, v35
	v_dual_fma_f32 v20, -v37, v36, v32 :: v_dual_fmac_f32 v17, v40, v17
	v_div_scale_f32 v30, s5, v7, v23, v7
	s_delay_alu instid0(TRANS32_DEP_1) | instskip(NEXT) | instid1(VALU_DEP_3)
	v_fma_f32 v40, -v33, v41, 1.0
	v_dual_fma_f32 v9, -v11, v31, v9 :: v_dual_fmac_f32 v36, v20, v22
	s_delay_alu instid0(VALU_DEP_3)
	v_mul_f32_e32 v11, v30, v17
	s_mov_b32 vcc_lo, s3
	v_div_scale_f32 v20, s3, v6, v23, v6
	v_div_fmas_f32 v10, v27, v10, v38
	s_mov_b32 vcc_lo, s4
	v_div_fixup_f32 v27, v8, v29, v28
	v_div_fmas_f32 v31, v9, v35, v31
	v_dual_fma_f32 v9, -v37, v36, v32 :: v_dual_fmac_f32 v41, v40, v41
	v_fma_f32 v35, -v21, v11, v30
	s_mov_b32 vcc_lo, s2
	s_delay_alu instid0(VALU_DEP_2) | instskip(SKIP_1) | instid1(VALU_DEP_2)
	v_div_fmas_f32 v9, v9, v22, v36
	s_mov_b32 vcc_lo, s5
	v_fmac_f32_e32 v11, v35, v17
	v_mul_f32_e32 v32, v20, v41
	s_delay_alu instid0(VALU_DEP_3) | instskip(SKIP_1) | instid1(VALU_DEP_3)
	v_div_fixup_f32 v3, v9, v39, v3
	v_pk_add_f32 v[8:9], v[24:25], v[26:27]
	v_fma_f32 v22, -v33, v32, v20
	s_delay_alu instid0(VALU_DEP_1) | instskip(SKIP_2) | instid1(VALU_DEP_3)
	v_fmac_f32_e32 v32, v22, v41
	v_div_fixup_f32 v22, v31, v29, v2
	v_fma_f32 v2, -v21, v11, v30
	v_dual_add_f32 v21, v34, v3 :: v_dual_fma_f32 v3, -v33, v32, v20
	s_delay_alu instid0(VALU_DEP_2) | instskip(SKIP_2) | instid1(VALU_DEP_3)
	v_div_fmas_f32 v11, v2, v17, v11
	s_mov_b32 vcc_lo, s3
	v_div_fixup_f32 v2, v10, v23, v18
	v_div_fmas_f32 v17, v3, v41, v32
	v_cmp_lt_f32_e32 vcc_lo, v15, v16
	v_div_fixup_f32 v3, v4, v23, v19
	v_add_f32_e32 v4, v22, v21
	v_div_fixup_f32 v7, v11, v23, v7
	v_div_fixup_f32 v6, v17, v23, v6
	v_cndmask_b32_e32 v15, v15, v16, vcc_lo
	v_cmp_lt_f32_e32 vcc_lo, v13, v14
	v_pk_add_f32 v[10:11], v[2:3], v[8:9]
	v_mov_b32_e32 v2, v23
	v_pk_add_f32 v[4:5], v[4:5], v[6:7]
	v_cndmask_b32_e32 v14, v14, v13, vcc_lo
.LBB9_68:
	s_or_b32 exec_lo, exec_lo, s7
	v_cmp_gt_u32_e32 vcc_lo, 28, v1
	s_mov_b32 s7, exec_lo
	v_cndmask_b32_e64 v3, 0, 4, vcc_lo
	s_delay_alu instid0(VALU_DEP_1)
	v_add_lshl_u32 v3, v3, v1, 2
	s_wait_dscnt 0x6
	ds_bpermute_b32 v7, v3, v2
	s_wait_dscnt 0x6
	ds_bpermute_b32 v13, v3, v14
	;; [unrolled: 2-line block ×7, first 2 shown]
	v_add_nc_u32_e32 v3, 4, v1
	s_delay_alu instid0(VALU_DEP_1)
	v_cmpx_lt_u32_e64 v3, v12
	s_cbranch_execz .LBB9_70
; %bb.69:
	s_wait_dscnt 0x2
	v_pk_mul_f32 v[18:19], v[10:11], v[6:7]
	s_wait_dscnt 0x0
	v_dual_mov_b32 v3, v10 :: v_dual_add_f32 v34, v4, v8
	v_dual_mul_f32 v18, v2, v6 :: v_dual_mul_f32 v8, v2, v17
	s_delay_alu instid0(VALU_DEP_3) | instskip(SKIP_1) | instid1(VALU_DEP_3)
	v_dual_mov_b32 v4, v19 :: v_dual_mov_b32 v20, v2
	v_dual_mov_b32 v21, v7 :: v_dual_add_f32 v23, v2, v7
	v_pk_fma_f32 v[18:19], v[2:3], v[6:7], v[18:19] op_sel_hi:[1,1,0] neg_lo:[1,0,0] neg_hi:[1,0,0]
	v_mov_b32_e32 v3, 0x40400000
	s_delay_alu instid0(VALU_DEP_4) | instskip(SKIP_2) | instid1(VALU_DEP_4)
	v_pk_add_f32 v[8:9], v[8:9], v[4:5] neg_lo:[0,1] neg_hi:[0,1]
	v_mul_f32_e32 v4, v7, v7
	v_dual_mov_b32 v31, v23 :: v_dual_mov_b32 v18, v7
	v_pk_mul_f32 v[24:25], v[2:3], v[20:21] op_sel_hi:[0,1]
	s_delay_alu instid0(VALU_DEP_4) | instskip(SKIP_3) | instid1(VALU_DEP_4)
	v_pk_mul_f32 v[26:27], v[8:9], v[8:9]
	v_sub_f32_e32 v22, v2, v7
	v_mov_b32_e32 v26, v6
	v_pk_mul_f32 v[28:29], v[10:11], v[4:5] op_sel_hi:[1,0]
	v_dual_mov_b32 v25, v24 :: v_dual_mul_f32 v4, v9, v27
	v_dual_mov_b32 v33, v9 :: v_dual_mov_b32 v32, v27
	s_delay_alu instid0(VALU_DEP_2) | instskip(NEXT) | instid1(VALU_DEP_3)
	v_pk_fma_f32 v[20:21], v[2:3], v[20:21], v[24:25] op_sel_hi:[0,1,1] neg_lo:[1,0,0] neg_hi:[1,0,0]
	v_dual_mul_f32 v20, v2, v4 :: v_dual_mov_b32 v25, v7
	s_delay_alu instid0(VALU_DEP_3) | instskip(SKIP_1) | instid1(VALU_DEP_3)
	v_pk_mul_f32 v[32:33], v[2:3], v[32:33]
	v_mul_f32_e32 v3, v9, v4
	v_dual_mov_b32 v29, v21 :: v_dual_mul_f32 v30, v20, v7
	v_mov_b32_e32 v20, v27
	s_delay_alu instid0(VALU_DEP_4) | instskip(NEXT) | instid1(VALU_DEP_4)
	v_pk_mul_f32 v[18:19], v[32:33], v[18:19]
	v_mul_f32_e32 v21, v2, v3
	s_delay_alu instid0(VALU_DEP_4) | instskip(SKIP_4) | instid1(VALU_DEP_4)
	v_pk_fma_f32 v[24:25], v[24:25], v[6:7], v[28:29]
	v_pk_mul_f32 v[28:29], v[22:23], v[30:31]
	v_mov_b32_e32 v6, 0x40c00000
	v_div_scale_f32 v4, null, v23, v23, v19
	v_div_scale_f32 v27, null, v23, v23, v18
	;; [unrolled: 1-line block ×3, first 2 shown]
	s_delay_alu instid0(VALU_DEP_3) | instskip(SKIP_2) | instid1(VALU_DEP_3)
	v_rcp_f32_e32 v30, v4
	v_pk_mul_f32 v[20:21], v[20:21], v[6:7]
	v_div_scale_f32 v6, s2, v19, v23, v19
	v_rcp_f32_e32 v31, v22
	v_div_scale_f32 v35, s3, v18, v23, v18
	s_delay_alu instid0(TRANS32_DEP_2) | instskip(SKIP_3) | instid1(TRANS32_DEP_1)
	v_fma_f32 v2, -v4, v30, 1.0
	v_add_f32_e32 v3, v11, v17
	v_pk_mul_f32 v[20:21], v[20:21], v[24:25]
	v_div_scale_f32 v24, vcc_lo, v28, v29, v28
	v_fma_f32 v17, -v22, v31, 1.0
	v_fmac_f32_e32 v30, v2, v30
	v_rcp_f32_e32 v11, v27
	s_delay_alu instid0(VALU_DEP_2) | instskip(NEXT) | instid1(VALU_DEP_2)
	v_dual_mov_b32 v2, v10 :: v_dual_fmac_f32 v31, v17, v31
	v_mul_f32_e32 v25, v6, v30
	v_div_scale_f32 v17, null, v29, v29, v20
	s_delay_alu instid0(TRANS32_DEP_1) | instskip(NEXT) | instid1(VALU_DEP_4)
	v_fma_f32 v10, -v27, v11, 1.0
	v_mul_f32_e32 v32, v24, v31
	s_delay_alu instid0(VALU_DEP_4) | instskip(NEXT) | instid1(VALU_DEP_4)
	v_fma_f32 v36, -v4, v25, v6
	v_rcp_f32_e32 v33, v17
	s_delay_alu instid0(VALU_DEP_3) | instskip(NEXT) | instid1(VALU_DEP_2)
	v_dual_mul_f32 v38, v23, v29 :: v_dual_fmac_f32 v11, v10, v11
	v_dual_fma_f32 v37, -v22, v32, v24 :: v_dual_fmac_f32 v25, v36, v30
	s_delay_alu instid0(VALU_DEP_2) | instskip(NEXT) | instid1(VALU_DEP_2)
	v_div_scale_f32 v36, null, v38, v38, v21
	v_fmac_f32_e32 v32, v37, v31
	s_delay_alu instid0(TRANS32_DEP_1) | instskip(NEXT) | instid1(VALU_DEP_4)
	v_fma_f32 v10, -v17, v33, 1.0
	v_dual_mul_f32 v37, v35, v11 :: v_dual_fma_f32 v4, -v4, v25, v6
	s_delay_alu instid0(VALU_DEP_3) | instskip(NEXT) | instid1(VALU_DEP_3)
	v_dual_mul_f32 v6, 4.0, v9 :: v_dual_fma_f32 v22, -v22, v32, v24
	v_fmac_f32_e32 v33, v10, v33
	v_rcp_f32_e32 v10, v36
	s_delay_alu instid0(VALU_DEP_2) | instskip(SKIP_3) | instid1(TRANS32_DEP_1)
	v_pk_mul_f32 v[6:7], v[8:9], v[6:7]
	v_div_scale_f32 v8, s4, v20, v29, v20
	v_div_fmas_f32 v22, v22, v31, v32
	s_mov_b32 vcc_lo, s2
	v_fma_f32 v9, -v36, v10, 1.0
	v_div_scale_f32 v24, null, v23, v23, v7
	v_div_fmas_f32 v4, v4, v30, v25
	s_delay_alu instid0(VALU_DEP_3) | instskip(NEXT) | instid1(VALU_DEP_3)
	v_dual_fma_f32 v25, -v27, v37, v35 :: v_dual_fmac_f32 v10, v9, v10
	v_rcp_f32_e32 v9, v24
	v_mul_f32_e32 v30, v8, v33
	v_div_scale_f32 v31, s2, v21, v38, v21
	s_delay_alu instid0(VALU_DEP_3) | instskip(SKIP_1) | instid1(TRANS32_DEP_1)
	v_fmac_f32_e32 v37, v25, v11
	v_div_scale_f32 v32, null, v23, v23, v6
	v_fma_f32 v40, -v24, v9, 1.0
	s_delay_alu instid0(VALU_DEP_3) | instskip(SKIP_1) | instid1(VALU_DEP_3)
	v_dual_fma_f32 v25, -v17, v30, v8 :: v_dual_fma_f32 v27, -v27, v37, v35
	v_div_scale_f32 v35, s5, v7, v23, v7
	v_dual_fmac_f32 v9, v40, v9 :: v_dual_mul_f32 v39, v31, v10
	s_delay_alu instid0(VALU_DEP_3) | instskip(SKIP_2) | instid1(VALU_DEP_1)
	v_fmac_f32_e32 v30, v25, v33
	v_rcp_f32_e32 v41, v32
	s_mov_b32 vcc_lo, s3
	v_dual_fma_f32 v25, -v36, v39, v31 :: v_dual_fma_f32 v8, -v17, v30, v8
	v_div_fmas_f32 v11, v27, v11, v37
	v_mul_f32_e32 v17, v35, v9
	s_mov_b32 vcc_lo, s4
	s_delay_alu instid0(VALU_DEP_3) | instskip(SKIP_3) | instid1(VALU_DEP_3)
	v_fmac_f32_e32 v39, v25, v10
	v_div_scale_f32 v25, s3, v6, v23, v6
	v_div_fmas_f32 v8, v8, v33, v30
	s_mov_b32 vcc_lo, s2
	v_fma_f32 v27, -v36, v39, v31
	v_fma_f32 v40, -v32, v41, 1.0
	v_fma_f32 v31, -v24, v17, v35
	v_div_fixup_f32 v20, v8, v29, v20
	s_delay_alu instid0(VALU_DEP_4) | instskip(SKIP_2) | instid1(VALU_DEP_2)
	v_div_fmas_f32 v10, v27, v10, v39
	s_mov_b32 vcc_lo, s5
	v_div_fixup_f32 v27, v22, v29, v28
	v_div_fixup_f32 v10, v10, v38, v21
	v_fmac_f32_e32 v41, v40, v41
	s_delay_alu instid0(VALU_DEP_3) | instskip(NEXT) | instid1(VALU_DEP_2)
	v_pk_add_f32 v[2:3], v[2:3], v[26:27]
	v_dual_add_f32 v10, v34, v10 :: v_dual_mul_f32 v30, v25, v41
	v_fmac_f32_e32 v17, v31, v9
	s_delay_alu instid0(VALU_DEP_2) | instskip(NEXT) | instid1(VALU_DEP_2)
	v_fma_f32 v33, -v32, v30, v25
	v_fma_f32 v8, -v24, v17, v35
	s_delay_alu instid0(VALU_DEP_2) | instskip(NEXT) | instid1(VALU_DEP_2)
	v_fmac_f32_e32 v30, v33, v41
	v_div_fmas_f32 v17, v8, v9, v17
	s_mov_b32 vcc_lo, s3
	v_div_fixup_f32 v9, v4, v23, v19
	v_div_fixup_f32 v8, v11, v23, v18
	v_fma_f32 v21, -v32, v30, v25
	v_add_f32_e32 v4, v20, v10
	v_div_fixup_f32 v7, v17, v23, v7
	s_delay_alu instid0(VALU_DEP_4) | instskip(NEXT) | instid1(VALU_DEP_4)
	v_pk_add_f32 v[10:11], v[8:9], v[2:3]
	v_div_fmas_f32 v21, v21, v41, v30
	v_cmp_lt_f32_e32 vcc_lo, v15, v16
	v_mov_b32_e32 v2, v23
	s_delay_alu instid0(VALU_DEP_3) | instskip(SKIP_2) | instid1(VALU_DEP_3)
	v_div_fixup_f32 v6, v21, v23, v6
	v_cndmask_b32_e32 v15, v15, v16, vcc_lo
	v_cmp_lt_f32_e32 vcc_lo, v13, v14
	v_pk_add_f32 v[4:5], v[4:5], v[6:7]
	v_cndmask_b32_e32 v14, v14, v13, vcc_lo
.LBB9_70:
	s_or_b32 exec_lo, exec_lo, s7
	v_cmp_gt_u32_e32 vcc_lo, 24, v1
	s_mov_b32 s7, exec_lo
	v_cndmask_b32_e64 v3, 0, 8, vcc_lo
	s_delay_alu instid0(VALU_DEP_1)
	v_add_lshl_u32 v3, v3, v1, 2
	s_wait_dscnt 0x6
	ds_bpermute_b32 v7, v3, v2
	s_wait_dscnt 0x6
	ds_bpermute_b32 v13, v3, v14
	;; [unrolled: 2-line block ×7, first 2 shown]
	v_add_nc_u32_e32 v3, 8, v1
	s_delay_alu instid0(VALU_DEP_1)
	v_cmpx_lt_u32_e64 v3, v12
	s_cbranch_execz .LBB9_72
; %bb.71:
	s_wait_dscnt 0x2
	v_pk_mul_f32 v[18:19], v[10:11], v[6:7]
	s_wait_dscnt 0x0
	v_dual_mov_b32 v3, v10 :: v_dual_add_f32 v34, v4, v8
	v_dual_mul_f32 v18, v2, v6 :: v_dual_mul_f32 v8, v2, v17
	s_delay_alu instid0(VALU_DEP_3) | instskip(SKIP_1) | instid1(VALU_DEP_3)
	v_dual_mov_b32 v4, v19 :: v_dual_mov_b32 v20, v2
	v_dual_mov_b32 v21, v7 :: v_dual_add_f32 v23, v2, v7
	v_pk_fma_f32 v[18:19], v[2:3], v[6:7], v[18:19] op_sel_hi:[1,1,0] neg_lo:[1,0,0] neg_hi:[1,0,0]
	v_mov_b32_e32 v3, 0x40400000
	s_delay_alu instid0(VALU_DEP_4) | instskip(SKIP_2) | instid1(VALU_DEP_4)
	v_pk_add_f32 v[8:9], v[8:9], v[4:5] neg_lo:[0,1] neg_hi:[0,1]
	v_mul_f32_e32 v4, v7, v7
	v_dual_mov_b32 v31, v23 :: v_dual_mov_b32 v18, v7
	v_pk_mul_f32 v[24:25], v[2:3], v[20:21] op_sel_hi:[0,1]
	s_delay_alu instid0(VALU_DEP_4) | instskip(SKIP_3) | instid1(VALU_DEP_4)
	v_pk_mul_f32 v[26:27], v[8:9], v[8:9]
	v_sub_f32_e32 v22, v2, v7
	v_mov_b32_e32 v26, v6
	v_pk_mul_f32 v[28:29], v[10:11], v[4:5] op_sel_hi:[1,0]
	v_dual_mov_b32 v25, v24 :: v_dual_mul_f32 v4, v9, v27
	v_dual_mov_b32 v33, v9 :: v_dual_mov_b32 v32, v27
	s_delay_alu instid0(VALU_DEP_2) | instskip(NEXT) | instid1(VALU_DEP_3)
	v_pk_fma_f32 v[20:21], v[2:3], v[20:21], v[24:25] op_sel_hi:[0,1,1] neg_lo:[1,0,0] neg_hi:[1,0,0]
	v_dual_mul_f32 v20, v2, v4 :: v_dual_mov_b32 v25, v7
	s_delay_alu instid0(VALU_DEP_3) | instskip(SKIP_1) | instid1(VALU_DEP_3)
	v_pk_mul_f32 v[32:33], v[2:3], v[32:33]
	v_mul_f32_e32 v3, v9, v4
	v_dual_mov_b32 v29, v21 :: v_dual_mul_f32 v30, v20, v7
	v_mov_b32_e32 v20, v27
	s_delay_alu instid0(VALU_DEP_4) | instskip(NEXT) | instid1(VALU_DEP_4)
	v_pk_mul_f32 v[18:19], v[32:33], v[18:19]
	v_mul_f32_e32 v21, v2, v3
	s_delay_alu instid0(VALU_DEP_4) | instskip(SKIP_4) | instid1(VALU_DEP_4)
	v_pk_fma_f32 v[24:25], v[24:25], v[6:7], v[28:29]
	v_pk_mul_f32 v[28:29], v[22:23], v[30:31]
	v_mov_b32_e32 v6, 0x40c00000
	v_div_scale_f32 v4, null, v23, v23, v19
	v_div_scale_f32 v27, null, v23, v23, v18
	;; [unrolled: 1-line block ×3, first 2 shown]
	s_delay_alu instid0(VALU_DEP_3) | instskip(SKIP_2) | instid1(VALU_DEP_3)
	v_rcp_f32_e32 v30, v4
	v_pk_mul_f32 v[20:21], v[20:21], v[6:7]
	v_div_scale_f32 v6, s2, v19, v23, v19
	v_rcp_f32_e32 v31, v22
	v_div_scale_f32 v35, s3, v18, v23, v18
	s_delay_alu instid0(TRANS32_DEP_2) | instskip(SKIP_3) | instid1(TRANS32_DEP_1)
	v_fma_f32 v2, -v4, v30, 1.0
	v_add_f32_e32 v3, v11, v17
	v_pk_mul_f32 v[20:21], v[20:21], v[24:25]
	v_div_scale_f32 v24, vcc_lo, v28, v29, v28
	v_fma_f32 v17, -v22, v31, 1.0
	v_fmac_f32_e32 v30, v2, v30
	v_rcp_f32_e32 v11, v27
	s_delay_alu instid0(VALU_DEP_2) | instskip(NEXT) | instid1(VALU_DEP_2)
	v_dual_mov_b32 v2, v10 :: v_dual_fmac_f32 v31, v17, v31
	v_mul_f32_e32 v25, v6, v30
	v_div_scale_f32 v17, null, v29, v29, v20
	s_delay_alu instid0(TRANS32_DEP_1) | instskip(NEXT) | instid1(VALU_DEP_4)
	v_fma_f32 v10, -v27, v11, 1.0
	v_mul_f32_e32 v32, v24, v31
	s_delay_alu instid0(VALU_DEP_4) | instskip(NEXT) | instid1(VALU_DEP_4)
	v_fma_f32 v36, -v4, v25, v6
	v_rcp_f32_e32 v33, v17
	s_delay_alu instid0(VALU_DEP_3) | instskip(NEXT) | instid1(VALU_DEP_2)
	v_dual_mul_f32 v38, v23, v29 :: v_dual_fmac_f32 v11, v10, v11
	v_dual_fma_f32 v37, -v22, v32, v24 :: v_dual_fmac_f32 v25, v36, v30
	s_delay_alu instid0(VALU_DEP_2) | instskip(NEXT) | instid1(VALU_DEP_2)
	v_div_scale_f32 v36, null, v38, v38, v21
	v_fmac_f32_e32 v32, v37, v31
	s_delay_alu instid0(TRANS32_DEP_1) | instskip(NEXT) | instid1(VALU_DEP_4)
	v_fma_f32 v10, -v17, v33, 1.0
	v_dual_mul_f32 v37, v35, v11 :: v_dual_fma_f32 v4, -v4, v25, v6
	s_delay_alu instid0(VALU_DEP_3) | instskip(NEXT) | instid1(VALU_DEP_3)
	v_dual_mul_f32 v6, 4.0, v9 :: v_dual_fma_f32 v22, -v22, v32, v24
	v_fmac_f32_e32 v33, v10, v33
	v_rcp_f32_e32 v10, v36
	s_delay_alu instid0(VALU_DEP_2) | instskip(SKIP_3) | instid1(TRANS32_DEP_1)
	v_pk_mul_f32 v[6:7], v[8:9], v[6:7]
	v_div_scale_f32 v8, s4, v20, v29, v20
	v_div_fmas_f32 v22, v22, v31, v32
	s_mov_b32 vcc_lo, s2
	v_fma_f32 v9, -v36, v10, 1.0
	v_div_scale_f32 v24, null, v23, v23, v7
	v_div_fmas_f32 v4, v4, v30, v25
	s_delay_alu instid0(VALU_DEP_3) | instskip(NEXT) | instid1(VALU_DEP_3)
	v_dual_fma_f32 v25, -v27, v37, v35 :: v_dual_fmac_f32 v10, v9, v10
	v_rcp_f32_e32 v9, v24
	v_mul_f32_e32 v30, v8, v33
	v_div_scale_f32 v31, s2, v21, v38, v21
	s_delay_alu instid0(VALU_DEP_3) | instskip(SKIP_1) | instid1(TRANS32_DEP_1)
	v_fmac_f32_e32 v37, v25, v11
	v_div_scale_f32 v32, null, v23, v23, v6
	v_fma_f32 v40, -v24, v9, 1.0
	s_delay_alu instid0(VALU_DEP_3) | instskip(SKIP_1) | instid1(VALU_DEP_3)
	v_dual_fma_f32 v25, -v17, v30, v8 :: v_dual_fma_f32 v27, -v27, v37, v35
	v_div_scale_f32 v35, s5, v7, v23, v7
	v_dual_fmac_f32 v9, v40, v9 :: v_dual_mul_f32 v39, v31, v10
	s_delay_alu instid0(VALU_DEP_3) | instskip(SKIP_2) | instid1(VALU_DEP_1)
	v_fmac_f32_e32 v30, v25, v33
	v_rcp_f32_e32 v41, v32
	s_mov_b32 vcc_lo, s3
	v_dual_fma_f32 v25, -v36, v39, v31 :: v_dual_fma_f32 v8, -v17, v30, v8
	v_div_fmas_f32 v11, v27, v11, v37
	v_mul_f32_e32 v17, v35, v9
	s_mov_b32 vcc_lo, s4
	s_delay_alu instid0(VALU_DEP_3) | instskip(SKIP_3) | instid1(VALU_DEP_3)
	v_fmac_f32_e32 v39, v25, v10
	v_div_scale_f32 v25, s3, v6, v23, v6
	v_div_fmas_f32 v8, v8, v33, v30
	s_mov_b32 vcc_lo, s2
	v_fma_f32 v27, -v36, v39, v31
	v_fma_f32 v40, -v32, v41, 1.0
	v_fma_f32 v31, -v24, v17, v35
	v_div_fixup_f32 v20, v8, v29, v20
	s_delay_alu instid0(VALU_DEP_4) | instskip(SKIP_2) | instid1(VALU_DEP_2)
	v_div_fmas_f32 v10, v27, v10, v39
	s_mov_b32 vcc_lo, s5
	v_div_fixup_f32 v27, v22, v29, v28
	v_div_fixup_f32 v10, v10, v38, v21
	v_fmac_f32_e32 v41, v40, v41
	s_delay_alu instid0(VALU_DEP_3) | instskip(NEXT) | instid1(VALU_DEP_2)
	v_pk_add_f32 v[2:3], v[2:3], v[26:27]
	v_dual_add_f32 v10, v34, v10 :: v_dual_mul_f32 v30, v25, v41
	v_fmac_f32_e32 v17, v31, v9
	s_delay_alu instid0(VALU_DEP_2) | instskip(NEXT) | instid1(VALU_DEP_2)
	v_fma_f32 v33, -v32, v30, v25
	v_fma_f32 v8, -v24, v17, v35
	s_delay_alu instid0(VALU_DEP_2) | instskip(NEXT) | instid1(VALU_DEP_2)
	v_fmac_f32_e32 v30, v33, v41
	v_div_fmas_f32 v17, v8, v9, v17
	s_mov_b32 vcc_lo, s3
	v_div_fixup_f32 v9, v4, v23, v19
	v_div_fixup_f32 v8, v11, v23, v18
	v_fma_f32 v21, -v32, v30, v25
	v_add_f32_e32 v4, v20, v10
	v_div_fixup_f32 v7, v17, v23, v7
	s_delay_alu instid0(VALU_DEP_4) | instskip(NEXT) | instid1(VALU_DEP_4)
	v_pk_add_f32 v[10:11], v[8:9], v[2:3]
	v_div_fmas_f32 v21, v21, v41, v30
	v_cmp_lt_f32_e32 vcc_lo, v15, v16
	v_mov_b32_e32 v2, v23
	s_delay_alu instid0(VALU_DEP_3) | instskip(SKIP_2) | instid1(VALU_DEP_3)
	v_div_fixup_f32 v6, v21, v23, v6
	v_cndmask_b32_e32 v15, v15, v16, vcc_lo
	v_cmp_lt_f32_e32 vcc_lo, v13, v14
	v_pk_add_f32 v[4:5], v[4:5], v[6:7]
	v_cndmask_b32_e32 v14, v14, v13, vcc_lo
.LBB9_72:
	s_or_b32 exec_lo, exec_lo, s7
	s_wait_dscnt 0x0
	v_dual_lshlrev_b32 v18, 2, v1 :: v_dual_add_nc_u32 v8, 16, v1
	s_mov_b32 s7, exec_lo
	s_delay_alu instid0(VALU_DEP_1)
	v_or_b32_e32 v3, 64, v18
	ds_bpermute_b32 v7, v3, v2
	ds_bpermute_b32 v13, v3, v14
	;; [unrolled: 1-line block ×7, first 2 shown]
	v_cmpx_lt_u32_e64 v8, v12
	s_cbranch_execz .LBB9_74
; %bb.73:
	s_wait_dscnt 0x2
	v_pk_mul_f32 v[20:21], v[10:11], v[6:7]
	s_wait_dscnt 0x0
	v_dual_add_f32 v38, v4, v3 :: v_dual_mul_f32 v8, v2, v17
	v_dual_mov_b32 v23, v7 :: v_dual_mov_b32 v25, v7
	s_delay_alu instid0(VALU_DEP_3) | instskip(SKIP_2) | instid1(VALU_DEP_3)
	v_dual_mov_b32 v4, v21 :: v_dual_add_f32 v21, v2, v7
	v_dual_sub_f32 v20, v2, v7 :: v_dual_mul_f32 v12, v2, v6
	v_dual_mov_b32 v3, v10 :: v_dual_mov_b32 v22, v2
	v_pk_add_f32 v[8:9], v[8:9], v[4:5] neg_lo:[0,1] neg_hi:[0,1]
	v_dual_mul_f32 v4, v7, v7 :: v_dual_mov_b32 v26, v6
	s_delay_alu instid0(VALU_DEP_3) | instskip(NEXT) | instid1(VALU_DEP_3)
	v_pk_fma_f32 v[28:29], v[2:3], v[6:7], v[12:13] op_sel_hi:[1,1,0] neg_lo:[1,0,0] neg_hi:[1,0,0]
	v_dual_mov_b32 v3, 0x40400000 :: v_dual_mul_f32 v24, 4.0, v9
	s_delay_alu instid0(VALU_DEP_3) | instskip(SKIP_2) | instid1(VALU_DEP_4)
	v_pk_mul_f32 v[30:31], v[10:11], v[4:5] op_sel_hi:[1,0]
	v_pk_mul_f32 v[36:37], v[8:9], v[8:9]
	v_dual_mov_b32 v33, v21 :: v_dual_mov_b32 v28, v7
	v_pk_mul_f32 v[24:25], v[8:9], v[24:25]
	v_pk_mul_f32 v[34:35], v[2:3], v[22:23] op_sel_hi:[0,1]
	v_mov_b32_e32 v35, v7
	s_delay_alu instid0(VALU_DEP_3) | instskip(NEXT) | instid1(VALU_DEP_4)
	v_div_scale_f32 v4, null, v21, v21, v25
	v_div_scale_f32 v12, null, v21, v21, v24
	s_delay_alu instid0(VALU_DEP_4) | instskip(NEXT) | instid1(VALU_DEP_3)
	v_mov_b32_e32 v19, v34
	v_rcp_f32_e32 v27, v4
	v_div_scale_f32 v39, vcc_lo, v25, v21, v25
	s_delay_alu instid0(VALU_DEP_3) | instskip(NEXT) | instid1(VALU_DEP_2)
	v_rcp_f32_e32 v36, v12
	v_pk_fma_f32 v[22:23], v[2:3], v[22:23], v[18:19] op_sel_hi:[0,1,1] neg_lo:[1,0,0] neg_hi:[1,0,0]
	v_div_scale_f32 v40, s2, v24, v21, v24
	s_delay_alu instid0(TRANS32_DEP_2) | instskip(SKIP_1) | instid1(TRANS32_DEP_1)
	v_fma_f32 v22, -v4, v27, 1.0
	v_mul_f32_e32 v19, v9, v37
	v_fma_f32 v31, -v12, v36, 1.0
	s_delay_alu instid0(VALU_DEP_3) | instskip(NEXT) | instid1(VALU_DEP_2)
	v_dual_fmac_f32 v27, v22, v27 :: v_dual_mov_b32 v8, v37
	v_dual_mul_f32 v32, v2, v19 :: v_dual_fmac_f32 v36, v31, v36
	v_dual_mul_f32 v19, v9, v19 :: v_dual_mov_b32 v31, v23
	s_delay_alu instid0(VALU_DEP_3) | instskip(NEXT) | instid1(VALU_DEP_3)
	v_mul_f32_e32 v41, v39, v27
	v_mul_f32_e32 v32, v32, v7
	s_delay_alu instid0(VALU_DEP_4) | instskip(SKIP_2) | instid1(VALU_DEP_4)
	v_mul_f32_e32 v42, v40, v36
	v_pk_mul_f32 v[8:9], v[2:3], v[8:9]
	v_pk_fma_f32 v[22:23], v[34:35], v[6:7], v[30:31]
	v_pk_mul_f32 v[30:31], v[20:21], v[32:33]
	s_delay_alu instid0(VALU_DEP_4) | instskip(SKIP_2) | instid1(VALU_DEP_4)
	v_fma_f32 v6, -v12, v42, v40
	v_fma_f32 v3, -v4, v41, v39
	v_pk_mul_f32 v[8:9], v[8:9], v[28:29]
	v_div_scale_f32 v20, null, v31, v31, v30
	s_delay_alu instid0(VALU_DEP_3) | instskip(SKIP_1) | instid1(VALU_DEP_3)
	v_dual_fmac_f32 v42, v6, v36 :: v_dual_fmac_f32 v41, v3, v27
	v_mul_f32_e32 v3, v2, v19
	v_rcp_f32_e32 v29, v20
	s_delay_alu instid0(VALU_DEP_2) | instskip(NEXT) | instid1(VALU_DEP_3)
	v_dual_mov_b32 v2, v37 :: v_dual_fma_f32 v12, -v12, v42, v40
	v_fma_f32 v4, -v4, v41, v39
	v_div_scale_f32 v28, null, v21, v21, v9
	s_delay_alu instid0(TRANS32_DEP_1) | instskip(SKIP_1) | instid1(VALU_DEP_4)
	v_fma_f32 v19, -v20, v29, 1.0
	v_mov_b32_e32 v6, 0x40c00000
	v_div_fmas_f32 v4, v4, v27, v41
	s_delay_alu instid0(VALU_DEP_4)
	v_rcp_f32_e32 v27, v28
	s_mov_b32 vcc_lo, s2
	v_fmac_f32_e32 v29, v19, v29
	v_pk_mul_f32 v[2:3], v[2:3], v[6:7]
	v_div_fmas_f32 v12, v12, v36, v42
	v_div_scale_f32 v6, vcc_lo, v30, v31, v30
	s_delay_alu instid0(TRANS32_DEP_1) | instskip(NEXT) | instid1(VALU_DEP_4)
	v_fma_f32 v7, -v28, v27, 1.0
	v_pk_mul_f32 v[2:3], v[2:3], v[22:23]
	v_div_scale_f32 v19, null, v21, v21, v8
	s_delay_alu instid0(VALU_DEP_4) | instskip(NEXT) | instid1(VALU_DEP_3)
	v_dual_mul_f32 v23, v21, v31 :: v_dual_mul_f32 v32, v6, v29
	v_div_scale_f32 v22, null, v31, v31, v2
	s_delay_alu instid0(VALU_DEP_3) | instskip(NEXT) | instid1(VALU_DEP_2)
	v_rcp_f32_e32 v33, v19
	v_dual_fmac_f32 v27, v7, v27 :: v_dual_fma_f32 v37, -v20, v32, v6
	s_delay_alu instid0(VALU_DEP_2) | instskip(SKIP_2) | instid1(TRANS32_DEP_2)
	v_rcp_f32_e32 v7, v22
	v_div_scale_f32 v35, null, v23, v23, v3
	v_div_scale_f32 v34, s2, v9, v21, v9
	v_fma_f32 v36, -v19, v33, 1.0
	s_delay_alu instid0(VALU_DEP_3) | instskip(NEXT) | instid1(TRANS32_DEP_2)
	v_rcp_f32_e32 v41, v35
	v_fma_f32 v40, -v22, v7, 1.0
	s_delay_alu instid0(VALU_DEP_3) | instskip(NEXT) | instid1(VALU_DEP_3)
	v_dual_mul_f32 v39, v34, v27 :: v_dual_fmac_f32 v32, v37, v29
	v_fmac_f32_e32 v33, v36, v33
	v_div_scale_f32 v36, s3, v8, v21, v8
	s_delay_alu instid0(VALU_DEP_4) | instskip(SKIP_2) | instid1(VALU_DEP_1)
	v_fmac_f32_e32 v7, v40, v7
	v_div_scale_f32 v40, s4, v2, v31, v2
	v_fma_f32 v42, -v35, v41, 1.0
	v_dual_fma_f32 v37, -v28, v39, v34 :: v_dual_fmac_f32 v41, v42, v41
	s_delay_alu instid0(VALU_DEP_1) | instskip(SKIP_2) | instid1(VALU_DEP_3)
	v_dual_mul_f32 v43, v36, v33 :: v_dual_fmac_f32 v39, v37, v27
	v_div_scale_f32 v42, s5, v3, v23, v3
	v_mul_f32_e32 v44, v40, v7
	v_dual_fma_f32 v6, -v20, v32, v6 :: v_dual_fma_f32 v20, -v19, v43, v36
	s_delay_alu instid0(VALU_DEP_3) | instskip(NEXT) | instid1(VALU_DEP_3)
	v_mul_f32_e32 v45, v42, v41
	v_fma_f32 v37, -v22, v44, v40
	s_delay_alu instid0(VALU_DEP_3) | instskip(SKIP_4) | instid1(VALU_DEP_3)
	v_div_fmas_f32 v29, v6, v29, v32
	v_fma_f32 v6, -v28, v39, v34
	v_fmac_f32_e32 v43, v20, v33
	s_mov_b32 vcc_lo, s2
	v_dual_fmac_f32 v44, v37, v7 :: v_dual_fma_f32 v20, -v35, v45, v42
	v_div_fmas_f32 v28, v6, v27, v39
	s_delay_alu instid0(VALU_DEP_3) | instskip(SKIP_1) | instid1(VALU_DEP_3)
	v_fma_f32 v6, -v19, v43, v36
	s_mov_b32 vcc_lo, s3
	v_dual_fma_f32 v19, -v22, v44, v40 :: v_dual_fmac_f32 v45, v20, v41
	v_div_fixup_f32 v27, v29, v31, v30
	s_delay_alu instid0(VALU_DEP_3)
	v_div_fmas_f32 v20, v6, v33, v43
	s_mov_b32 vcc_lo, s4
	v_div_fixup_f32 v9, v28, v21, v9
	v_fma_f32 v6, -v35, v45, v42
	v_div_fmas_f32 v19, v19, v7, v44
	s_mov_b32 vcc_lo, s5
	v_add_f32_e32 v7, v11, v17
	v_div_fixup_f32 v8, v20, v21, v8
	v_div_fmas_f32 v6, v6, v41, v45
	v_cmp_lt_f32_e32 vcc_lo, v15, v16
	s_delay_alu instid0(VALU_DEP_2)
	v_div_fixup_f32 v11, v6, v23, v3
	v_mov_b32_e32 v6, v10
	v_div_fixup_f32 v3, v4, v21, v25
	v_div_fixup_f32 v4, v19, v31, v2
	;; [unrolled: 1-line block ×3, first 2 shown]
	v_add_f32_e32 v10, v38, v11
	v_pk_add_f32 v[6:7], v[6:7], v[26:27]
	v_cndmask_b32_e32 v15, v15, v16, vcc_lo
	v_cmp_lt_f32_e32 vcc_lo, v13, v14
	s_delay_alu instid0(VALU_DEP_4) | instskip(NEXT) | instid1(VALU_DEP_4)
	v_add_f32_e32 v4, v4, v10
	v_pk_add_f32 v[10:11], v[8:9], v[6:7]
	v_cndmask_b32_e32 v14, v14, v13, vcc_lo
	s_delay_alu instid0(VALU_DEP_3)
	v_pk_add_f32 v[4:5], v[4:5], v[2:3]
	v_mov_b32_e32 v2, v21
.LBB9_74:
	s_or_b32 exec_lo, exec_lo, s7
	s_delay_alu instid0(SALU_CYCLE_1)
	s_mov_b32 s2, exec_lo
	v_cmpx_eq_u32_e32 0, v1
	s_cbranch_execz .LBB9_76
; %bb.75:
	s_wait_dscnt 0x0
	v_lshrrev_b32_e32 v3, 5, v0
	s_delay_alu instid0(VALU_DEP_1)
	v_mul_u32_u24_e32 v3, 28, v3
	ds_store_b32 v3, v2
	ds_store_2addr_b32 v3, v14, v15 offset0:1 offset1:2
	ds_store_2addr_b32 v3, v5, v10 offset0:3 offset1:4
	;; [unrolled: 1-line block ×3, first 2 shown]
.LBB9_76:
	s_or_b32 exec_lo, exec_lo, s2
	s_delay_alu instid0(SALU_CYCLE_1)
	s_mov_b32 s7, exec_lo
	s_wait_dscnt 0x0
	s_barrier_signal -1
	s_barrier_wait -1
	v_cmpx_gt_u32_e32 8, v0
	s_cbranch_execz .LBB9_84
; %bb.77:
	v_mul_u32_u24_e32 v4, 28, v1
	s_add_co_i32 s6, s6, 31
	ds_load_2addr_b32 v[2:3], v4 offset1:3
	ds_load_2addr_b32 v[14:15], v4 offset0:1 offset1:2
	v_and_b32_e32 v19, 7, v1
	ds_load_2addr_b32 v[10:11], v4 offset0:4 offset1:5
	ds_load_b32 v4, v4 offset:24
	s_lshr_b32 s6, s6, 5
	v_cmp_ne_u32_e32 vcc_lo, 7, v19
	v_add_co_ci_u32_e64 v5, null, 0, v1, vcc_lo
	s_wait_dscnt 0x3
	s_delay_alu instid0(VALU_DEP_1)
	v_dual_lshlrev_b32 v5, 2, v5 :: v_dual_mov_b32 v7, v2
	v_mov_b64_e32 v[16:17], v[2:3]
	ds_bpermute_b32 v9, v5, v2
	s_wait_dscnt 0x3
	ds_bpermute_b32 v20, v5, v14
	ds_bpermute_b32 v21, v5, v15
	;; [unrolled: 1-line block ×3, first 2 shown]
	s_wait_dscnt 0x5
	ds_bpermute_b32 v8, v5, v10
	ds_bpermute_b32 v6, v5, v11
	s_wait_dscnt 0x6
	ds_bpermute_b32 v22, v5, v4
	v_add_nc_u32_e32 v5, 1, v19
	s_delay_alu instid0(VALU_DEP_1)
	v_cmp_gt_u32_e32 vcc_lo, s6, v5
	v_mov_b32_e32 v5, v3
	s_and_saveexec_b32 s8, vcc_lo
	s_cbranch_execz .LBB9_79
; %bb.78:
	s_wait_dscnt 0x2
	v_pk_mul_f32 v[16:17], v[10:11], v[8:9]
	s_wait_dscnt 0x1
	v_dual_mul_f32 v12, v2, v6 :: v_dual_mov_b32 v27, v3
	v_dual_add_f32 v7, v2, v9 :: v_dual_add_f32 v25, v11, v6
	s_delay_alu instid0(VALU_DEP_3) | instskip(SKIP_2) | instid1(VALU_DEP_3)
	v_dual_mov_b32 v26, v17 :: v_dual_sub_f32 v6, v2, v9
	v_dual_mov_b32 v28, v2 :: v_dual_mov_b32 v29, v9
	v_dual_mov_b32 v16, v2 :: v_dual_mov_b32 v17, v10
	v_pk_add_f32 v[12:13], v[12:13], v[26:27] neg_lo:[0,1] neg_hi:[0,1]
	v_mov_b32_e32 v26, v2
	s_delay_alu instid0(VALU_DEP_4) | instskip(SKIP_1) | instid1(VALU_DEP_4)
	v_pk_mul_f32 v[32:33], v[2:3], v[28:29] op_sel_hi:[0,1]
	v_dual_mul_f32 v24, v2, v8 :: v_dual_mov_b32 v27, 0x40400000
	v_pk_mul_f32 v[30:31], v[12:13], v[12:13]
	v_dual_mul_f32 v30, v9, v9 :: v_dual_mov_b32 v34, v8
	s_delay_alu instid0(VALU_DEP_4) | instskip(NEXT) | instid1(VALU_DEP_3)
	v_dual_mov_b32 v5, v32 :: v_dual_mov_b32 v37, v13
	v_dual_mul_f32 v23, v13, v31 :: v_dual_mov_b32 v36, v31
	s_delay_alu instid0(VALU_DEP_3) | instskip(SKIP_1) | instid1(VALU_DEP_3)
	v_pk_mul_f32 v[38:39], v[10:11], v[30:31] op_sel_hi:[1,0]
	v_pk_fma_f32 v[16:17], v[16:17], v[8:9], v[24:25] op_sel_hi:[1,1,0] neg_lo:[1,0,0] neg_hi:[1,0,0]
	v_dual_mov_b32 v16, v9 :: v_dual_mul_f32 v11, v2, v23
	v_pk_fma_f32 v[28:29], v[2:3], v[28:29], v[4:5] op_sel_hi:[0,1,1] neg_lo:[1,0,0] neg_hi:[1,0,0]
	v_pk_mul_f32 v[26:27], v[26:27], v[36:37]
	v_dual_mov_b32 v37, v7 :: v_dual_mov_b32 v33, v9
	s_delay_alu instid0(VALU_DEP_3) | instskip(NEXT) | instid1(VALU_DEP_3)
	v_dual_mul_f32 v36, v11, v9 :: v_dual_mov_b32 v39, v29
	v_pk_mul_f32 v[16:17], v[26:27], v[16:17]
	v_dual_mul_f32 v5, v13, v23 :: v_dual_mov_b32 v26, v31
	s_delay_alu instid0(VALU_DEP_3) | instskip(NEXT) | instid1(VALU_DEP_4)
	v_pk_mul_f32 v[28:29], v[6:7], v[36:37]
	v_pk_fma_f32 v[30:31], v[32:33], v[8:9], v[38:39]
	s_delay_alu instid0(VALU_DEP_4) | instskip(SKIP_1) | instid1(VALU_DEP_4)
	v_div_scale_f32 v6, null, v7, v7, v17
	v_mov_b32_e32 v8, 0x40c00000
	v_div_scale_f32 v11, null, v29, v29, v28
	v_mul_f32_e32 v27, v2, v5
	s_delay_alu instid0(VALU_DEP_4) | instskip(SKIP_1) | instid1(VALU_DEP_3)
	v_rcp_f32_e32 v2, v6
	v_div_scale_f32 v24, null, v7, v7, v16
	v_rcp_f32_e32 v5, v11
	s_delay_alu instid0(VALU_DEP_2) | instskip(SKIP_1) | instid1(TRANS32_DEP_2)
	v_pk_mul_f32 v[26:27], v[26:27], v[8:9]
	v_div_scale_f32 v23, s2, v17, v7, v17
	v_fma_f32 v8, -v6, v2, 1.0
	v_div_scale_f32 v33, vcc_lo, v28, v29, v28
	s_delay_alu instid0(TRANS32_DEP_1) | instskip(SKIP_1) | instid1(VALU_DEP_3)
	v_fma_f32 v32, -v11, v5, 1.0
	v_rcp_f32_e32 v35, v24
	v_fmac_f32_e32 v2, v8, v2
	v_pk_mul_f32 v[26:27], v[26:27], v[30:31]
	v_div_scale_f32 v30, s3, v16, v7, v16
	s_delay_alu instid0(VALU_DEP_3) | instskip(NEXT) | instid1(VALU_DEP_3)
	v_dual_fmac_f32 v5, v32, v5 :: v_dual_mul_f32 v31, v23, v2
	v_div_scale_f32 v36, null, v29, v29, v26
	s_delay_alu instid0(TRANS32_DEP_1) | instskip(NEXT) | instid1(VALU_DEP_3)
	v_fma_f32 v8, -v24, v35, 1.0
	v_dual_mul_f32 v32, v33, v5 :: v_dual_fma_f32 v37, -v6, v31, v23
	v_mul_f32_e32 v39, v7, v29
	s_delay_alu instid0(VALU_DEP_4) | instskip(NEXT) | instid1(VALU_DEP_2)
	v_rcp_f32_e32 v40, v36
	v_dual_fmac_f32 v35, v8, v35 :: v_dual_fma_f32 v38, -v11, v32, v33
	s_delay_alu instid0(VALU_DEP_3) | instskip(NEXT) | instid1(VALU_DEP_3)
	v_fmac_f32_e32 v31, v37, v2
	v_div_scale_f32 v37, null, v39, v39, v27
	v_mul_f32_e32 v8, 4.0, v13
	s_delay_alu instid0(VALU_DEP_4)
	v_fmac_f32_e32 v32, v38, v5
	v_mul_f32_e32 v38, v30, v35
	v_fma_f32 v6, -v6, v31, v23
	v_fma_f32 v23, -v36, v40, 1.0
	v_pk_mul_f32 v[8:9], v[12:13], v[8:9]
	v_fma_f32 v11, -v11, v32, v33
	v_rcp_f32_e32 v33, v37
	s_delay_alu instid0(VALU_DEP_2) | instskip(NEXT) | instid1(VALU_DEP_2)
	v_div_scale_f32 v13, null, v7, v7, v9
	v_div_fmas_f32 v5, v11, v5, v32
	v_div_scale_f32 v11, s4, v26, v29, v26
	s_delay_alu instid0(TRANS32_DEP_1)
	v_fma_f32 v12, -v37, v33, 1.0
	v_fmac_f32_e32 v40, v23, v40
	s_mov_b32 vcc_lo, s2
	v_div_scale_f32 v32, null, v7, v7, v8
	v_div_fmas_f32 v6, v6, v2, v31
	v_fma_f32 v2, -v24, v38, v30
	v_dual_fmac_f32 v33, v12, v33 :: v_dual_mul_f32 v23, v11, v40
	v_div_scale_f32 v31, s2, v27, v39, v27
	v_rcp_f32_e32 v12, v13
	s_delay_alu instid0(VALU_DEP_3) | instskip(NEXT) | instid1(VALU_DEP_2)
	v_fmac_f32_e32 v38, v2, v35
	v_dual_fma_f32 v2, -v36, v23, v11 :: v_dual_mul_f32 v41, v31, v33
	v_rcp_f32_e32 v43, v32
	s_mov_b32 vcc_lo, s3
	s_delay_alu instid0(VALU_DEP_1) | instskip(NEXT) | instid1(TRANS32_DEP_2)
	v_dual_fma_f32 v24, -v24, v38, v30 :: v_dual_fmac_f32 v23, v2, v40
	v_fma_f32 v42, -v13, v12, 1.0
	v_fma_f32 v2, -v37, v41, v31
	v_div_scale_f32 v30, s5, v9, v7, v9
	s_delay_alu instid0(VALU_DEP_4) | instskip(NEXT) | instid1(VALU_DEP_4)
	v_div_fmas_f32 v38, v24, v35, v38
	v_fmac_f32_e32 v12, v42, v12
	v_fma_f32 v42, -v32, v43, 1.0
	v_dual_fma_f32 v11, -v36, v23, v11 :: v_dual_fmac_f32 v41, v2, v33
	s_mov_b32 vcc_lo, s4
	s_delay_alu instid0(VALU_DEP_3) | instskip(SKIP_1) | instid1(VALU_DEP_3)
	v_mul_f32_e32 v2, v30, v12
	v_div_scale_f32 v36, s3, v8, v7, v8
	v_div_fmas_f32 v11, v11, v40, v23
	v_fma_f32 v23, -v37, v41, v31
	s_delay_alu instid0(VALU_DEP_4) | instskip(SKIP_2) | instid1(VALU_DEP_3)
	v_dual_fmac_f32 v43, v42, v43 :: v_dual_fma_f32 v35, -v13, v2, v30
	s_mov_b32 vcc_lo, s2
	v_mov_b32_e32 v24, v10
	v_div_fmas_f32 v23, v23, v33, v41
	s_delay_alu instid0(VALU_DEP_3) | instskip(SKIP_2) | instid1(VALU_DEP_4)
	v_dual_mul_f32 v31, v36, v43 :: v_dual_fmac_f32 v2, v35, v12
	v_div_fixup_f32 v35, v5, v29, v28
	v_div_fixup_f32 v5, v11, v29, v26
	;; [unrolled: 1-line block ×3, first 2 shown]
	s_delay_alu instid0(VALU_DEP_4) | instskip(SKIP_3) | instid1(VALU_DEP_2)
	v_fma_f32 v33, -v32, v31, v36
	s_wait_dscnt 0x0
	v_add_f32_e32 v4, v4, v22
	s_mov_b32 vcc_lo, s5
	v_fmac_f32_e32 v31, v33, v43
	v_fma_f32 v11, -v13, v2, v30
	s_delay_alu instid0(VALU_DEP_3) | instskip(NEXT) | instid1(VALU_DEP_3)
	v_add_f32_e32 v4, v4, v10
	v_fma_f32 v10, -v32, v31, v36
	s_delay_alu instid0(VALU_DEP_3) | instskip(SKIP_1) | instid1(VALU_DEP_2)
	v_div_fmas_f32 v12, v11, v12, v2
	s_mov_b32 vcc_lo, s3
	v_div_fmas_f32 v13, v10, v43, v31
	v_cmp_lt_f32_e32 vcc_lo, v15, v21
	v_pk_add_f32 v[10:11], v[24:25], v[34:35]
	v_dual_cndmask_b32 v15, v15, v21 :: v_dual_add_f32 v2, v5, v4
	v_div_fixup_f32 v5, v12, v7, v9
	v_div_fixup_f32 v4, v13, v7, v8
	;; [unrolled: 1-line block ×4, first 2 shown]
	v_cmp_lt_f32_e32 vcc_lo, v20, v14
	s_delay_alu instid0(VALU_DEP_4) | instskip(SKIP_1) | instid1(VALU_DEP_4)
	v_pk_add_f32 v[4:5], v[2:3], v[4:5]
	v_mov_b32_e32 v2, v7
	v_pk_add_f32 v[10:11], v[8:9], v[10:11]
	v_cndmask_b32_e32 v14, v14, v20, vcc_lo
	s_delay_alu instid0(VALU_DEP_4)
	v_mov_b64_e32 v[16:17], v[4:5]
.LBB9_79:
	s_or_b32 exec_lo, exec_lo, s8
	v_cmp_gt_u32_e32 vcc_lo, 6, v19
	s_mov_b32 s8, exec_lo
	v_cndmask_b32_e64 v3, 0, 2, vcc_lo
	s_delay_alu instid0(VALU_DEP_1)
	v_add_lshl_u32 v3, v3, v1, 2
	s_wait_dscnt 0x6
	ds_bpermute_b32 v9, v3, v7
	ds_bpermute_b32 v1, v3, v14
	;; [unrolled: 1-line block ×3, first 2 shown]
	s_wait_dscnt 0x6
	ds_bpermute_b32 v13, v3, v17
	s_wait_dscnt 0x6
	ds_bpermute_b32 v8, v3, v10
	ds_bpermute_b32 v20, v3, v11
	s_wait_dscnt 0x7
	ds_bpermute_b32 v6, v3, v4
	v_add_nc_u32_e32 v3, 2, v19
	s_delay_alu instid0(VALU_DEP_1)
	v_cmpx_gt_u32_e64 s6, v3
	s_cbranch_execz .LBB9_81
; %bb.80:
	s_wait_dscnt 0x2
	v_pk_mul_f32 v[22:23], v[10:11], v[8:9]
	s_wait_dscnt 0x0
	v_dual_mov_b32 v3, v10 :: v_dual_add_f32 v21, v4, v6
	v_mul_f32_e32 v22, v2, v8
	v_dual_mul_f32 v12, v2, v20 :: v_dual_mov_b32 v24, v2
	v_dual_mov_b32 v4, v23 :: v_dual_mov_b32 v25, v9
	v_add_f32_e32 v7, v2, v9
	s_delay_alu instid0(VALU_DEP_4) | instskip(SKIP_1) | instid1(VALU_DEP_4)
	v_pk_fma_f32 v[22:23], v[2:3], v[8:9], v[22:23] op_sel_hi:[1,1,0] neg_lo:[1,0,0] neg_hi:[1,0,0]
	v_mov_b32_e32 v3, 0x40400000
	v_pk_add_f32 v[12:13], v[12:13], v[4:5] neg_lo:[0,1] neg_hi:[0,1]
	s_delay_alu instid0(VALU_DEP_4) | instskip(SKIP_1) | instid1(VALU_DEP_4)
	v_dual_mul_f32 v4, v9, v9 :: v_dual_mov_b32 v33, v7
	v_mov_b32_e32 v22, v9
	v_pk_mul_f32 v[26:27], v[2:3], v[24:25] op_sel_hi:[0,1]
	s_delay_alu instid0(VALU_DEP_4) | instskip(NEXT) | instid1(VALU_DEP_4)
	v_pk_mul_f32 v[28:29], v[12:13], v[12:13]
	v_pk_mul_f32 v[30:31], v[10:11], v[4:5] op_sel_hi:[1,0]
	v_dual_mov_b32 v35, v13 :: v_dual_mov_b32 v27, v9
	s_delay_alu instid0(VALU_DEP_3) | instskip(SKIP_2) | instid1(VALU_DEP_3)
	v_dual_mov_b32 v17, v26 :: v_dual_mul_f32 v4, v13, v29
	v_dual_mov_b32 v34, v29 :: v_dual_sub_f32 v6, v2, v9
	v_mov_b32_e32 v28, v8
	v_pk_fma_f32 v[24:25], v[2:3], v[24:25], v[16:17] op_sel_hi:[0,1,1] neg_lo:[1,0,0] neg_hi:[1,0,0]
	s_delay_alu instid0(VALU_DEP_4) | instskip(NEXT) | instid1(VALU_DEP_4)
	v_mul_f32_e32 v17, v2, v4
	v_pk_mul_f32 v[34:35], v[2:3], v[34:35]
	v_mul_f32_e32 v3, v13, v4
	s_delay_alu instid0(VALU_DEP_4) | instskip(NEXT) | instid1(VALU_DEP_3)
	v_dual_mov_b32 v24, v29 :: v_dual_mov_b32 v31, v25
	v_pk_mul_f32 v[22:23], v[34:35], v[22:23]
	s_delay_alu instid0(VALU_DEP_2) | instskip(SKIP_2) | instid1(VALU_DEP_4)
	v_pk_fma_f32 v[26:27], v[26:27], v[8:9], v[30:31]
	v_mov_b32_e32 v8, 0x40c00000
	v_dual_mul_f32 v32, v17, v9 :: v_dual_mul_f32 v25, v2, v3
	v_div_scale_f32 v4, null, v7, v7, v23
	v_div_scale_f32 v17, s2, v23, v7, v23
	s_delay_alu instid0(VALU_DEP_3) | instskip(NEXT) | instid1(VALU_DEP_3)
	v_pk_mul_f32 v[30:31], v[6:7], v[32:33]
	v_rcp_f32_e32 v29, v4
	v_pk_mul_f32 v[2:3], v[24:25], v[8:9]
	v_div_scale_f32 v33, null, v7, v7, v22
	s_delay_alu instid0(VALU_DEP_3) | instskip(NEXT) | instid1(VALU_DEP_3)
	v_div_scale_f32 v6, null, v31, v31, v30
	v_pk_mul_f32 v[2:3], v[2:3], v[26:27]
	s_delay_alu instid0(TRANS32_DEP_1) | instskip(SKIP_1) | instid1(VALU_DEP_4)
	v_fma_f32 v24, -v4, v29, 1.0
	v_div_scale_f32 v35, vcc_lo, v30, v31, v30
	v_rcp_f32_e32 v32, v6
	v_rcp_f32_e32 v36, v33
	s_delay_alu instid0(VALU_DEP_2) | instskip(SKIP_1) | instid1(TRANS32_DEP_2)
	v_dual_fmac_f32 v29, v24, v29 :: v_dual_mul_f32 v24, v7, v31
	v_div_scale_f32 v34, s3, v22, v7, v22
	v_fma_f32 v25, -v6, v32, 1.0
	v_mul_f32_e32 v8, 4.0, v13
	s_delay_alu instid0(VALU_DEP_4) | instskip(SKIP_1) | instid1(VALU_DEP_4)
	v_mul_f32_e32 v27, v17, v29
	v_div_scale_f32 v39, null, v24, v24, v3
	v_fmac_f32_e32 v32, v25, v32
	v_div_scale_f32 v25, null, v31, v31, v2
	v_pk_mul_f32 v[8:9], v[12:13], v[8:9]
	v_fma_f32 v12, -v33, v36, 1.0
	s_delay_alu instid0(VALU_DEP_4) | instskip(NEXT) | instid1(VALU_DEP_4)
	v_mul_f32_e32 v26, v35, v32
	v_rcp_f32_e32 v13, v25
	v_fma_f32 v38, -v4, v27, v17
	s_delay_alu instid0(VALU_DEP_2) | instskip(NEXT) | instid1(VALU_DEP_2)
	v_dual_fmac_f32 v36, v12, v36 :: v_dual_fma_f32 v37, -v6, v26, v35
	v_fmac_f32_e32 v27, v38, v29
	s_delay_alu instid0(TRANS32_DEP_1) | instskip(NEXT) | instid1(VALU_DEP_3)
	v_fma_f32 v12, -v25, v13, 1.0
	v_mul_f32_e32 v38, v34, v36
	s_delay_alu instid0(VALU_DEP_4)
	v_fmac_f32_e32 v26, v37, v32
	v_rcp_f32_e32 v37, v39
	v_fma_f32 v4, -v4, v27, v17
	v_fmac_f32_e32 v13, v12, v13
	v_div_scale_f32 v12, s4, v2, v31, v2
	v_fma_f32 v6, -v6, v26, v35
	v_div_scale_f32 v35, null, v7, v7, v8
	s_delay_alu instid0(TRANS32_DEP_1) | instskip(NEXT) | instid1(VALU_DEP_3)
	v_fma_f32 v17, -v39, v37, 1.0
	v_div_fmas_f32 v6, v6, v32, v26
	v_div_scale_f32 v26, null, v7, v7, v9
	s_mov_b32 vcc_lo, s2
	v_fmac_f32_e32 v37, v17, v37
	v_div_fmas_f32 v27, v4, v29, v27
	v_mul_f32_e32 v29, v12, v13
	v_div_scale_f32 v32, s2, v3, v24, v3
	v_fma_f32 v4, -v33, v38, v34
	v_rcp_f32_e32 v17, v26
	v_rcp_f32_e32 v42, v35
	s_delay_alu instid0(VALU_DEP_2) | instskip(SKIP_2) | instid1(TRANS32_DEP_2)
	v_mul_f32_e32 v40, v32, v37
	s_mov_b32 vcc_lo, s3
	v_dual_fmac_f32 v38, v4, v36 :: v_dual_fma_f32 v4, -v25, v29, v12
	v_fma_f32 v41, -v26, v17, 1.0
	s_delay_alu instid0(VALU_DEP_2) | instskip(NEXT) | instid1(VALU_DEP_2)
	v_dual_fma_f32 v33, -v33, v38, v34 :: v_dual_fmac_f32 v29, v4, v13
	v_dual_fma_f32 v4, -v39, v40, v32 :: v_dual_fmac_f32 v17, v41, v17
	v_div_scale_f32 v34, s5, v9, v7, v9
	v_fma_f32 v41, -v35, v42, 1.0
	s_delay_alu instid0(VALU_DEP_4) | instskip(NEXT) | instid1(VALU_DEP_4)
	v_fma_f32 v12, -v25, v29, v12
	v_fmac_f32_e32 v40, v4, v37
	v_div_fmas_f32 v33, v33, v36, v38
	s_mov_b32 vcc_lo, s4
	v_dual_fmac_f32 v42, v41, v42 :: v_dual_mul_f32 v4, v34, v17
	v_div_scale_f32 v25, s3, v8, v7, v8
	v_div_fmas_f32 v12, v12, v13, v29
	v_fma_f32 v13, -v39, v40, v32
	s_mov_b32 vcc_lo, s2
	s_delay_alu instid0(VALU_DEP_3) | instskip(NEXT) | instid1(VALU_DEP_2)
	v_dual_mul_f32 v29, v25, v42 :: v_dual_fma_f32 v32, -v26, v4, v34
	v_div_fmas_f32 v13, v13, v37, v40
	s_mov_b32 vcc_lo, s5
	s_delay_alu instid0(VALU_DEP_2) | instskip(NEXT) | instid1(VALU_DEP_2)
	v_fmac_f32_e32 v4, v32, v17
	v_div_fixup_f32 v13, v13, v24, v3
	v_add_f32_e32 v3, v11, v20
	v_fma_f32 v36, -v35, v29, v25
	v_div_fixup_f32 v11, v12, v31, v2
	s_delay_alu instid0(VALU_DEP_4) | instskip(NEXT) | instid1(VALU_DEP_3)
	v_dual_fma_f32 v2, -v26, v4, v34 :: v_dual_add_f32 v12, v21, v13
	v_fmac_f32_e32 v29, v36, v42
	s_delay_alu instid0(VALU_DEP_2) | instskip(SKIP_1) | instid1(VALU_DEP_2)
	v_div_fmas_f32 v17, v2, v17, v4
	s_mov_b32 vcc_lo, s3
	v_dual_mov_b32 v2, v10 :: v_dual_fma_f32 v13, -v35, v29, v25
	v_div_fixup_f32 v10, v33, v7, v22
	s_delay_alu instid0(VALU_DEP_3) | instskip(NEXT) | instid1(VALU_DEP_3)
	v_div_fixup_f32 v9, v17, v7, v9
	v_div_fmas_f32 v13, v13, v42, v29
	v_cmp_lt_f32_e32 vcc_lo, v15, v16
	v_div_fixup_f32 v29, v6, v31, v30
	s_delay_alu instid0(VALU_DEP_3)
	v_div_fixup_f32 v8, v13, v7, v8
	v_cndmask_b32_e32 v15, v15, v16, vcc_lo
	v_cmp_lt_f32_e32 vcc_lo, v1, v14
	v_add_f32_e32 v4, v11, v12
	v_pk_add_f32 v[2:3], v[2:3], v[28:29]
	v_div_fixup_f32 v11, v27, v7, v23
	v_cndmask_b32_e32 v14, v14, v1, vcc_lo
	s_delay_alu instid0(VALU_DEP_4) | instskip(NEXT) | instid1(VALU_DEP_3)
	v_pk_add_f32 v[4:5], v[4:5], v[8:9]
	v_pk_add_f32 v[10:11], v[10:11], v[2:3]
	s_delay_alu instid0(VALU_DEP_2)
	v_dual_mov_b32 v2, v7 :: v_dual_mov_b32 v17, v5
.LBB9_81:
	s_or_b32 exec_lo, exec_lo, s8
	s_wait_dscnt 0x2
	v_dual_add_nc_u32 v8, 4, v19 :: v_dual_bitop2_b32 v3, 16, v18 bitop3:0x54
	ds_bpermute_b32 v7, v3, v7
	ds_bpermute_b32 v1, v3, v14
	;; [unrolled: 1-line block ×4, first 2 shown]
	s_wait_dscnt 0x4
	ds_bpermute_b32 v6, v3, v10
	ds_bpermute_b32 v13, v3, v11
	ds_bpermute_b32 v3, v3, v4
	v_cmp_gt_u32_e32 vcc_lo, s6, v8
	s_and_saveexec_b32 s6, vcc_lo
	s_cbranch_execz .LBB9_83
; %bb.82:
	s_wait_dscnt 0x2
	v_pk_mul_f32 v[16:17], v[10:11], v[6:7]
	s_wait_dscnt 0x0
	v_dual_add_f32 v34, v4, v3 :: v_dual_mul_f32 v8, v2, v13
	v_dual_mov_b32 v21, v7 :: v_dual_mov_b32 v23, v7
	s_delay_alu instid0(VALU_DEP_3) | instskip(SKIP_2) | instid1(VALU_DEP_3)
	v_dual_mov_b32 v4, v17 :: v_dual_add_f32 v17, v2, v7
	v_dual_sub_f32 v16, v2, v7 :: v_dual_mul_f32 v18, v2, v6
	v_dual_mov_b32 v3, v10 :: v_dual_mov_b32 v20, v2
	v_pk_add_f32 v[8:9], v[8:9], v[4:5] neg_lo:[0,1] neg_hi:[0,1]
	v_dual_mul_f32 v4, v7, v7 :: v_dual_mov_b32 v24, v6
	s_delay_alu instid0(VALU_DEP_3) | instskip(NEXT) | instid1(VALU_DEP_3)
	v_pk_fma_f32 v[18:19], v[2:3], v[6:7], v[18:19] op_sel_hi:[1,1,0] neg_lo:[1,0,0] neg_hi:[1,0,0]
	v_dual_mov_b32 v3, 0x40400000 :: v_dual_mul_f32 v22, 4.0, v9
	s_delay_alu instid0(VALU_DEP_3) | instskip(SKIP_2) | instid1(VALU_DEP_4)
	v_pk_mul_f32 v[26:27], v[10:11], v[4:5] op_sel_hi:[1,0]
	v_pk_mul_f32 v[32:33], v[8:9], v[8:9]
	v_dual_mov_b32 v29, v17 :: v_dual_mov_b32 v18, v7
	v_pk_mul_f32 v[22:23], v[8:9], v[22:23]
	v_pk_mul_f32 v[30:31], v[2:3], v[20:21] op_sel_hi:[0,1]
	v_mov_b32_e32 v31, v7
	s_delay_alu instid0(VALU_DEP_3) | instskip(NEXT) | instid1(VALU_DEP_4)
	v_div_scale_f32 v4, null, v17, v17, v23
	v_div_scale_f32 v35, null, v17, v17, v22
	s_delay_alu instid0(VALU_DEP_4) | instskip(NEXT) | instid1(VALU_DEP_3)
	v_mov_b32_e32 v25, v30
	v_rcp_f32_e32 v32, v4
	v_div_scale_f32 v37, s2, v22, v17, v22
	s_delay_alu instid0(VALU_DEP_3) | instskip(NEXT) | instid1(VALU_DEP_2)
	v_rcp_f32_e32 v36, v35
	v_pk_fma_f32 v[20:21], v[2:3], v[20:21], v[24:25] op_sel_hi:[0,1,1] neg_lo:[1,0,0] neg_hi:[1,0,0]
	v_div_scale_f32 v25, vcc_lo, v23, v17, v23
	s_delay_alu instid0(TRANS32_DEP_2) | instskip(SKIP_1) | instid1(TRANS32_DEP_1)
	v_fma_f32 v27, -v4, v32, 1.0
	v_mul_f32_e32 v20, v9, v33
	v_fma_f32 v28, -v35, v36, 1.0
	s_delay_alu instid0(VALU_DEP_3) | instskip(NEXT) | instid1(VALU_DEP_3)
	v_dual_fmac_f32 v32, v27, v32 :: v_dual_mov_b32 v8, v33
	v_mul_f32_e32 v38, v2, v20
	s_delay_alu instid0(VALU_DEP_3) | instskip(SKIP_1) | instid1(VALU_DEP_4)
	v_dual_fmac_f32 v36, v28, v36 :: v_dual_mov_b32 v27, v21
	v_mul_f32_e32 v39, v9, v20
	v_pk_mul_f32 v[8:9], v[2:3], v[8:9]
	s_delay_alu instid0(VALU_DEP_4) | instskip(NEXT) | instid1(VALU_DEP_4)
	v_dual_mul_f32 v28, v38, v7 :: v_dual_mul_f32 v38, v25, v32
	v_pk_fma_f32 v[20:21], v[30:31], v[6:7], v[26:27]
	v_mul_f32_e32 v40, v37, v36
	s_delay_alu instid0(VALU_DEP_4) | instskip(NEXT) | instid1(VALU_DEP_4)
	v_pk_mul_f32 v[8:9], v[8:9], v[18:19]
	v_pk_mul_f32 v[26:27], v[16:17], v[28:29]
	v_fma_f32 v3, -v4, v38, v25
	s_delay_alu instid0(VALU_DEP_4) | instskip(NEXT) | instid1(VALU_DEP_4)
	v_fma_f32 v6, -v35, v40, v37
	v_div_scale_f32 v18, null, v17, v17, v9
	s_delay_alu instid0(VALU_DEP_4) | instskip(NEXT) | instid1(VALU_DEP_4)
	v_div_scale_f32 v16, null, v27, v27, v26
	v_dual_fmac_f32 v38, v3, v32 :: v_dual_mul_f32 v3, v2, v39
	v_mov_b32_e32 v2, v33
	s_delay_alu instid0(VALU_DEP_3) | instskip(NEXT) | instid1(VALU_DEP_2)
	v_rcp_f32_e32 v19, v16
	v_dual_fmac_f32 v40, v6, v36 :: v_dual_fma_f32 v4, -v4, v38, v25
	v_rcp_f32_e32 v29, v18
	s_delay_alu instid0(VALU_DEP_1) | instskip(NEXT) | instid1(TRANS32_DEP_2)
	v_fma_f32 v25, -v35, v40, v37
	v_fma_f32 v28, -v16, v19, 1.0
	v_mov_b32_e32 v6, 0x40c00000
	v_div_fmas_f32 v4, v4, v32, v38
	s_mov_b32 vcc_lo, s2
	v_div_scale_f32 v32, s2, v9, v17, v9
	v_fmac_f32_e32 v19, v28, v19
	v_pk_mul_f32 v[2:3], v[2:3], v[6:7]
	v_div_fmas_f32 v30, v25, v36, v40
	v_div_scale_f32 v6, vcc_lo, v26, v27, v26
	v_fma_f32 v7, -v18, v29, 1.0
	s_delay_alu instid0(VALU_DEP_4) | instskip(SKIP_1) | instid1(VALU_DEP_3)
	v_pk_mul_f32 v[2:3], v[2:3], v[20:21]
	v_div_scale_f32 v20, null, v17, v17, v8
	v_dual_mul_f32 v25, v17, v27 :: v_dual_fmac_f32 v29, v7, v29
	s_delay_alu instid0(VALU_DEP_3) | instskip(NEXT) | instid1(VALU_DEP_3)
	v_div_scale_f32 v21, null, v27, v27, v2
	v_rcp_f32_e32 v31, v20
	s_delay_alu instid0(VALU_DEP_2) | instskip(NEXT) | instid1(VALU_DEP_2)
	v_dual_mul_f32 v28, v6, v19 :: v_dual_mul_f32 v37, v32, v29
	v_rcp_f32_e32 v7, v21
	v_div_scale_f32 v33, null, v25, v25, v3
	s_delay_alu instid0(TRANS32_DEP_2) | instskip(NEXT) | instid1(VALU_DEP_3)
	v_fma_f32 v35, -v20, v31, 1.0
	v_fma_f32 v36, -v16, v28, v6
	s_delay_alu instid0(VALU_DEP_3) | instskip(NEXT) | instid1(TRANS32_DEP_2)
	v_rcp_f32_e32 v39, v33
	v_fma_f32 v38, -v21, v7, 1.0
	s_delay_alu instid0(VALU_DEP_3) | instskip(SKIP_3) | instid1(TRANS32_DEP_1)
	v_fmac_f32_e32 v31, v35, v31
	v_div_scale_f32 v35, s3, v8, v17, v8
	v_fmac_f32_e32 v28, v36, v19
	v_fma_f32 v36, -v18, v37, v32
	v_fma_f32 v40, -v33, v39, 1.0
	s_delay_alu instid0(VALU_DEP_2) | instskip(NEXT) | instid1(VALU_DEP_4)
	v_dual_mul_f32 v41, v35, v31 :: v_dual_fmac_f32 v37, v36, v29
	v_dual_fmac_f32 v7, v38, v7 :: v_dual_fma_f32 v6, -v16, v28, v6
	v_div_scale_f32 v38, s4, v2, v27, v2
	s_delay_alu instid0(VALU_DEP_3) | instskip(NEXT) | instid1(VALU_DEP_3)
	v_fma_f32 v16, -v20, v41, v35
	v_div_fmas_f32 v19, v6, v19, v28
	s_delay_alu instid0(VALU_DEP_3) | instskip(SKIP_2) | instid1(VALU_DEP_3)
	v_mul_f32_e32 v42, v38, v7
	v_fmac_f32_e32 v39, v40, v39
	v_div_scale_f32 v40, s5, v3, v25, v3
	v_dual_fma_f32 v6, -v18, v37, v32 :: v_dual_fma_f32 v36, -v21, v42, v38
	s_mov_b32 vcc_lo, s2
	s_delay_alu instid0(VALU_DEP_2) | instskip(NEXT) | instid1(VALU_DEP_2)
	v_mul_f32_e32 v43, v40, v39
	v_div_fmas_f32 v18, v6, v29, v37
	s_delay_alu instid0(VALU_DEP_3) | instskip(SKIP_1) | instid1(VALU_DEP_4)
	v_fmac_f32_e32 v42, v36, v7
	v_fmac_f32_e32 v41, v16, v31
	v_fma_f32 v16, -v33, v43, v40
	s_mov_b32 vcc_lo, s3
	v_div_fixup_f32 v9, v18, v17, v9
	s_delay_alu instid0(VALU_DEP_2) | instskip(SKIP_1) | instid1(VALU_DEP_1)
	v_dual_fmac_f32 v43, v16, v39 :: v_dual_fma_f32 v16, -v21, v42, v38
	v_fma_f32 v6, -v20, v41, v35
	v_div_fmas_f32 v20, v6, v31, v41
	s_delay_alu instid0(VALU_DEP_3)
	v_fma_f32 v6, -v33, v43, v40
	s_mov_b32 vcc_lo, s4
	v_div_fmas_f32 v16, v16, v7, v42
	s_mov_b32 vcc_lo, s5
	v_add_f32_e32 v7, v11, v13
	v_div_fmas_f32 v6, v6, v39, v43
	v_cmp_lt_f32_e32 vcc_lo, v15, v12
	v_div_fixup_f32 v8, v20, v17, v8
	s_delay_alu instid0(VALU_DEP_3)
	v_div_fixup_f32 v11, v6, v25, v3
	v_mov_b32_e32 v6, v10
	v_div_fixup_f32 v25, v19, v27, v26
	v_div_fixup_f32 v3, v4, v17, v23
	;; [unrolled: 1-line block ×3, first 2 shown]
	v_dual_add_f32 v10, v34, v11 :: v_dual_cndmask_b32 v15, v15, v12
	v_div_fixup_f32 v2, v30, v17, v22
	v_pk_add_f32 v[6:7], v[6:7], v[24:25]
	v_cmp_lt_f32_e32 vcc_lo, v1, v14
	s_delay_alu instid0(VALU_DEP_4) | instskip(NEXT) | instid1(VALU_DEP_3)
	v_add_f32_e32 v4, v4, v10
	v_pk_add_f32 v[10:11], v[8:9], v[6:7]
	v_cndmask_b32_e32 v14, v14, v1, vcc_lo
	s_delay_alu instid0(VALU_DEP_3)
	v_pk_add_f32 v[4:5], v[4:5], v[2:3]
	v_mov_b32_e32 v2, v17
.LBB9_83:
	s_or_b32 exec_lo, exec_lo, s6
.LBB9_84:
	s_delay_alu instid0(SALU_CYCLE_1)
	s_or_b32 exec_lo, exec_lo, s7
.LBB9_85:
                                        ; implicit-def: $vgpr9
                                        ; implicit-def: $vgpr13
                                        ; implicit-def: $vgpr16_vgpr17
	s_delay_alu instid0(SALU_CYCLE_1)
	s_mov_b32 s2, exec_lo
	v_cmpx_eq_u32_e32 0, v0
	s_xor_b32 s7, exec_lo, s2
	s_cbranch_execz .LBB9_89
; %bb.86:
	v_mov_b64_e32 v[16:17], s[20:21]
	s_wait_dscnt 0x3
	v_dual_mov_b32 v9, s15 :: v_dual_mov_b32 v8, s14
	s_wait_dscnt 0x0
	v_dual_mov_b32 v7, s13 :: v_dual_mov_b32 v13, s12
	v_mov_b32_e32 v18, s22
	s_cmp_eq_u64 s[18:19], 0
	s_cbranch_scc1 .LBB9_88
; %bb.87:
	v_mov_b64_e32 v[6:7], s[14:15]
	v_mov_b64_e32 v[8:9], s[20:21]
	v_dual_mov_b32 v16, s12 :: v_dual_mov_b32 v17, s20
	v_dual_mov_b32 v12, v10 :: v_dual_mov_b32 v13, v2
	v_mul_f32_e32 v18, s12, v10
	v_pk_add_f32 v[20:21], v[4:5], v[6:7] neg_lo:[0,1] neg_hi:[0,1]
	v_pk_add_f32 v[22:23], v[8:9], v[10:11]
	v_mov_b32_e32 v22, s20
	v_mov_b64_e32 v[24:25], s[12:13]
	v_pk_fma_f32 v[6:7], v[16:17], v[12:13], v[18:19] op_sel_hi:[1,1,0] neg_lo:[1,0,0] neg_hi:[1,0,0]
	v_pk_mul_f32 v[18:19], v[20:21], v[20:21]
	v_dual_mov_b32 v17, v2 :: v_dual_mul_f32 v30, v2, v2
	v_mov_b32_e32 v31, s12
	v_dual_mul_f32 v3, 0x40400000, v21 :: v_dual_add_f32 v34, s22, v4
	s_delay_alu instid0(VALU_DEP_4) | instskip(NEXT) | instid1(VALU_DEP_4)
	v_mov_b32_e32 v6, v19
	v_pk_mul_f32 v[26:27], s[12:13], v[16:17] op_sel_hi:[0,1]
	v_dual_mul_f32 v1, v21, v19 :: v_dual_mul_f32 v18, v21, v2
	v_cmp_gt_f32_e32 vcc_lo, s13, v14
	s_delay_alu instid0(VALU_DEP_4) | instskip(NEXT) | instid1(VALU_DEP_3)
	v_pk_mul_f32 v[28:29], v[24:25], v[6:7]
	v_dual_mov_b32 v12, v27 :: v_dual_mul_f32 v5, s12, v1
	v_dual_mul_f32 v6, v21, v1 :: v_dual_mov_b32 v20, v19
	v_mov_b32_e32 v29, v7
	s_delay_alu instid0(VALU_DEP_3) | instskip(SKIP_1) | instid1(VALU_DEP_3)
	v_pk_fma_f32 v[12:13], s[12:13], v[16:17], v[12:13] op_sel_hi:[0,1,1] neg_lo:[0,0,1] neg_hi:[0,0,1]
	v_dual_mov_b32 v13, v2 :: v_dual_mov_b32 v27, s12
	v_pk_mul_f32 v[28:29], v[2:3], v[28:29]
	s_delay_alu instid0(VALU_DEP_2) | instskip(SKIP_3) | instid1(VALU_DEP_4)
	v_pk_add_f32 v[12:13], v[30:31], v[12:13]
	v_dual_mul_f32 v1, v2, v5 :: v_dual_sub_f32 v5, s12, v2
	v_pk_mul_f32 v[6:7], v[24:25], v[6:7] op_sel_hi:[1,0]
	v_mov_b32_e32 v31, v2
	v_div_scale_f32 v17, null, v13, v13, v18
	v_mov_b32_e32 v3, v13
	v_mul_f32_e32 v1, v5, v1
	v_div_scale_f32 v35, null, v13, v13, v29
	s_delay_alu instid0(VALU_DEP_4) | instskip(SKIP_2) | instid1(VALU_DEP_3)
	v_rcp_f32_e32 v32, v17
	v_mov_b32_e32 v7, v13
	v_div_scale_f32 v37, null, v13, v13, v28
	v_rcp_f32_e32 v38, v35
	v_mov_b64_e32 v[4:5], 0x4080000040c00000
	s_delay_alu instid0(VALU_DEP_3) | instskip(SKIP_3) | instid1(VALU_DEP_4)
	v_pk_mul_f32 v[24:25], v[2:3], v[6:7]
	v_cndmask_b32_e32 v7, s13, v14, vcc_lo
	v_fma_f32 v3, -v17, v32, 1.0
	v_div_scale_f32 v14, vcc_lo, v18, v13, v18
	v_div_scale_f32 v6, null, v25, v25, v1
	s_delay_alu instid0(VALU_DEP_3) | instskip(SKIP_1) | instid1(VALU_DEP_3)
	v_fmac_f32_e32 v32, v3, v32
	v_div_scale_f32 v36, s2, v1, v25, v1
	v_rcp_f32_e32 v33, v6
	v_pk_mul_f32 v[4:5], v[20:21], v[4:5]
	s_delay_alu instid0(TRANS32_DEP_1) | instskip(NEXT) | instid1(VALU_DEP_1)
	v_fma_f32 v2, -v6, v33, 1.0
	v_fmac_f32_e32 v33, v2, v33
	s_delay_alu instid0(VALU_DEP_1) | instskip(NEXT) | instid1(VALU_DEP_1)
	v_dual_mul_f32 v19, v14, v32 :: v_dual_mul_f32 v39, v36, v33
	v_fma_f32 v3, -v17, v19, v14
	s_delay_alu instid0(VALU_DEP_1) | instskip(SKIP_1) | instid1(VALU_DEP_4)
	v_fmac_f32_e32 v19, v3, v32
	v_pk_mul_f32 v[2:3], v[8:9], v[30:31]
	v_fma_f32 v9, -v6, v39, v36
	v_rcp_f32_e32 v30, v37
	s_delay_alu instid0(VALU_DEP_3) | instskip(SKIP_1) | instid1(VALU_DEP_3)
	v_fma_f32 v8, -v17, v19, v14
	v_fma_f32 v14, -v35, v38, 1.0
	v_fmac_f32_e32 v39, v9, v33
	v_pk_mul_f32 v[16:17], v[12:13], v[24:25]
	s_delay_alu instid0(VALU_DEP_4) | instskip(NEXT) | instid1(VALU_DEP_4)
	v_div_fmas_f32 v8, v8, v32, v19
	v_fmac_f32_e32 v38, v14, v38
	v_div_scale_f32 v19, s3, v29, v13, v29
	s_mov_b32 vcc_lo, s2
	v_div_fixup_f32 v14, v8, v13, v18
	v_pk_fma_f32 v[8:9], v[26:27], v[10:11], v[2:3] neg_lo:[0,0,1] neg_hi:[0,0,1]
	v_pk_fma_f32 v[2:3], v[26:27], v[10:11], v[2:3]
	v_fma_f32 v8, -v37, v30, 1.0
	v_div_scale_f32 v11, null, v17, v17, v16
	s_delay_alu instid0(VALU_DEP_4) | instskip(NEXT) | instid1(VALU_DEP_3)
	v_dual_mov_b32 v3, v9 :: v_dual_mul_f32 v9, v19, v38
	v_dual_fmac_f32 v30, v8, v30 :: v_dual_fma_f32 v6, -v6, v39, v36
	s_delay_alu instid0(VALU_DEP_2) | instskip(NEXT) | instid1(VALU_DEP_4)
	v_pk_mul_f32 v[2:3], v[4:5], v[2:3]
	v_rcp_f32_e32 v5, v11
	v_div_scale_f32 v4, s4, v28, v13, v28
	v_fma_f32 v12, -v35, v9, v19
	s_delay_alu instid0(VALU_DEP_3) | instskip(SKIP_1) | instid1(TRANS32_DEP_1)
	v_div_scale_f32 v8, null, v25, v25, v2
	v_div_scale_f32 v24, null, v13, v13, v3
	v_fma_f32 v18, -v11, v5, 1.0
	s_delay_alu instid0(VALU_DEP_3) | instskip(SKIP_1) | instid1(VALU_DEP_3)
	v_rcp_f32_e32 v20, v8
	v_mul_f32_e32 v21, v4, v30
	v_rcp_f32_e32 v27, v24
	v_fmac_f32_e32 v9, v12, v38
	v_fmac_f32_e32 v5, v18, v5
	v_div_scale_f32 v18, s2, v16, v17, v16
	s_delay_alu instid0(TRANS32_DEP_2) | instskip(SKIP_1) | instid1(TRANS32_DEP_1)
	v_fma_f32 v26, -v8, v20, 1.0
	v_fma_f32 v12, -v37, v21, v4
	v_fma_f32 v32, -v24, v27, 1.0
	s_delay_alu instid0(VALU_DEP_4) | instskip(SKIP_3) | instid1(VALU_DEP_4)
	v_mul_f32_e32 v31, v18, v5
	v_div_fmas_f32 v6, v6, v33, v39
	v_dual_fmac_f32 v20, v26, v20 :: v_dual_fma_f32 v19, -v35, v9, v19
	v_div_scale_f32 v26, s5, v2, v25, v2
	v_dual_fmac_f32 v21, v12, v30 :: v_dual_fma_f32 v12, -v11, v31, v18
	s_delay_alu instid0(VALU_DEP_2)
	v_dual_fmac_f32 v27, v32, v27 :: v_dual_mul_f32 v33, v26, v20
	v_div_scale_f32 v32, s6, v3, v13, v3
	s_mov_b32 vcc_lo, s3
	v_fma_f32 v4, -v37, v21, v4
	v_div_fmas_f32 v9, v19, v38, v9
	v_fmac_f32_e32 v31, v12, v5
	v_mul_f32_e32 v19, v32, v27
	v_fma_f32 v12, -v8, v33, v26
	s_mov_b32 vcc_lo, s4
	v_div_fmas_f32 v21, v4, v30, v21
	s_mov_b32 vcc_lo, s2
	s_delay_alu instid0(VALU_DEP_2) | instskip(SKIP_1) | instid1(VALU_DEP_2)
	v_dual_fmac_f32 v33, v12, v20 :: v_dual_fma_f32 v4, -v11, v31, v18
	v_fma_f32 v11, -v24, v19, v32
	v_div_fmas_f32 v12, v4, v5, v31
	v_div_fixup_f32 v5, v6, v25, v1
	s_delay_alu instid0(VALU_DEP_4) | instskip(SKIP_3) | instid1(VALU_DEP_3)
	v_fma_f32 v1, -v8, v33, v26
	s_mov_b32 vcc_lo, s5
	v_dual_mov_b32 v4, v10 :: v_dual_fmac_f32 v19, v11, v27
	v_div_fixup_f32 v6, v12, v17, v16
	v_div_fmas_f32 v1, v1, v20, v33
	s_mov_b32 vcc_lo, s6
	s_delay_alu instid0(VALU_DEP_3)
	v_pk_add_f32 v[4:5], v[22:23], v[4:5]
	v_div_fixup_f32 v11, v9, v13, v29
	v_add_f32_e32 v6, v34, v6
	v_div_fixup_f32 v1, v1, v25, v2
	v_fma_f32 v8, -v24, v19, v32
	v_div_fixup_f32 v10, v21, v13, v28
	s_delay_alu instid0(VALU_DEP_3) | instskip(NEXT) | instid1(VALU_DEP_3)
	v_add_f32_e32 v1, v1, v6
	v_div_fmas_f32 v8, v8, v27, v19
	v_cmp_lt_f32_e32 vcc_lo, s14, v15
	s_delay_alu instid0(VALU_DEP_4) | instskip(NEXT) | instid1(VALU_DEP_3)
	v_pk_add_f32 v[16:17], v[4:5], v[10:11]
	v_div_fixup_f32 v2, v8, v13, v3
	v_cndmask_b32_e32 v8, s14, v15, vcc_lo
	s_delay_alu instid0(VALU_DEP_2)
	v_dual_add_f32 v9, s15, v14 :: v_dual_add_f32 v18, v2, v1
.LBB9_88:
	s_or_b32 s23, s23, exec_lo
.LBB9_89:
	s_or_b32 exec_lo, exec_lo, s7
	s_branch .LBB9_98
.LBB9_90:
	s_cmp_eq_u32 s9, 1
	s_cbranch_scc0 .LBB9_97
; %bb.91:
	s_bfe_u32 s2, ttmp6, 0x4000c
	s_and_b32 s3, ttmp6, 15
	s_add_co_i32 s2, s2, 1
	s_getreg_b32 s4, hwreg(HW_REG_IB_STS2, 6, 4)
	s_mul_i32 s2, ttmp9, s2
	s_mov_b32 s25, 0
	s_add_co_i32 s3, s3, s2
	s_cmp_eq_u32 s4, 0
	s_wait_dscnt 0x5
	v_mbcnt_lo_u32_b32 v1, -1, 0
	s_cselect_b32 s10, ttmp9, s3
	s_mov_b32 s11, s25
	s_lshr_b64 s[2:3], s[18:19], 8
	s_lshl_b32 s24, s10, 8
	s_cmp_lg_u64 s[2:3], s[10:11]
	s_cbranch_scc0 .LBB9_100
; %bb.92:
	s_mul_u64 s[2:3], s[24:25], 28
	v_mov_b64_e32 v[4:5], 0x40c0000040800000
	s_add_nc_u64 s[2:3], s[16:17], s[2:3]
	s_wait_dscnt 0x0
	v_mad_nc_u64_u32 v[2:3], v0, 28, s[2:3]
	s_clause 0x1
	global_load_b128 v[6:9], v[2:3], off
	global_load_b96 v[10:12], v[2:3], off offset:16
	s_wait_loadcnt 0x1
	s_wait_xcnt 0x0
	v_dual_mov_b32 v2, 0x40400000 :: v_dual_mov_b32 v3, v6
	v_mov_b32_dpp v17, v7 quad_perm:[1,0,3,2] row_mask:0xf bank_mask:0xf
	v_mov_b32_dpp v18, v8 quad_perm:[1,0,3,2] row_mask:0xf bank_mask:0xf
	;; [unrolled: 1-line block ×4, first 2 shown]
	s_wait_loadcnt 0x0
	v_mov_b32_dpp v19, v11 quad_perm:[1,0,3,2] row_mask:0xf bank_mask:0xf
	v_cmp_lt_f32_e32 vcc_lo, v7, v17
	v_mov_b32_dpp v21, v12 quad_perm:[1,0,3,2] row_mask:0xf bank_mask:0xf
	v_mov_b32_dpp v14, v10 quad_perm:[1,0,3,2] row_mask:0xf bank_mask:0xf
	v_dual_mul_f32 v22, v6, v6 :: v_dual_mov_b32 v13, v6
	v_cndmask_b32_e32 v7, v17, v7, vcc_lo
	v_cmp_gt_f32_e32 vcc_lo, v8, v18
	v_dual_sub_f32 v16, v9, v20 :: v_dual_add_f32 v23, v11, v19
	v_dual_add_f32 v21, v12, v21 :: v_dual_mul_f32 v12, v6, v14
	v_dual_mov_b32 v9, v15 :: v_dual_cndmask_b32 v17, v18, v8, vcc_lo
	v_mov_b32_dpp v27, v7 quad_perm:[2,3,0,1] row_mask:0xf bank_mask:0xf
	v_mul_f32_e32 v18, v6, v19
	v_dual_mul_f32 v8, v10, v15 :: v_dual_mul_f32 v19, v15, v15
	s_delay_alu instid0(VALU_DEP_4) | instskip(NEXT) | instid1(VALU_DEP_4)
	v_mov_b32_dpp v28, v17 quad_perm:[2,3,0,1] row_mask:0xf bank_mask:0xf
	v_cmp_lt_f32_e32 vcc_lo, v7, v27
	v_dual_mul_f32 v22, v22, v14 :: v_dual_mul_f32 v24, v16, v16
	v_dual_mul_f32 v25, v6, v16 :: v_dual_mul_f32 v26, 4.0, v16
	v_dual_fma_f32 v29, -v6, v15, v19 :: v_dual_fma_f32 v18, v11, v15, -v18
	v_dual_mov_b32 v11, v6 :: v_dual_cndmask_b32 v27, v27, v7, vcc_lo
	v_cmp_gt_f32_e32 vcc_lo, v17, v28
	v_fmac_f32_e32 v22, v10, v19
	v_pk_add_f32 v[8:9], v[8:9], v[12:13] neg_lo:[0,1] neg_hi:[0,1]
	v_dual_mul_f32 v12, v16, v24 :: v_dual_mul_f32 v13, 0x40c00000, v24
	v_cndmask_b32_e32 v28, v28, v17, vcc_lo
	v_dual_mul_f32 v7, v24, v15 :: v_dual_fmac_f32 v29, v6, v6
	v_mul_f32_e32 v24, v26, v18
	v_mov_b32_dpp v18, v27 row_ror:4 row_mask:0xf bank_mask:0xf
	v_pk_add_f32 v[10:11], v[10:11], v[14:15]
	v_mov_b32_dpp v26, v28 row_ror:4 row_mask:0xf bank_mask:0xf
	v_dual_mul_f32 v14, v16, v12 :: v_dual_mul_f32 v30, v6, v7
	v_mul_f32_e32 v22, v13, v22
	v_cmp_lt_f32_e64 s3, v27, v18
	v_dual_mul_f32 v17, v12, v15 :: v_dual_mov_b32 v19, v11
	v_pk_mul_f32 v[12:13], v[10:11], v[10:11]
	v_mov_b32_dpp v7, v11 quad_perm:[2,3,0,1] row_mask:0xf bank_mask:0xf
	s_delay_alu instid0(VALU_DEP_4) | instskip(SKIP_4) | instid1(VALU_DEP_4)
	v_cndmask_b32_e64 v18, v18, v27, s3
	v_cmp_gt_f32_e64 s3, v28, v26
	v_div_scale_f32 v12, null, v11, v11, v25
	v_mul_f32_e32 v27, v14, v15
	v_div_scale_f32 v35, null, v11, v11, v30
	v_dual_cndmask_b32 v26, v26, v28, s3 :: v_dual_mul_f32 v39, v7, v7
	v_mul_f32_e32 v28, v11, v13
	v_pk_mul_f32 v[14:15], v[2:3], v[16:17]
	v_mov_b32_dpp v40, v18 row_ror:8 row_mask:0xf bank_mask:0xf
	v_rcp_f32_e32 v34, v12
	v_dual_mov_b32 v3, v11 :: v_dual_mov_b32 v17, v7
	v_mul_f32_e32 v6, v6, v27
	v_rcp_f32_e32 v27, v35
	v_mov_b32_dpp v41, v26 row_ror:8 row_mask:0xf bank_mask:0xf
	v_pk_mul_f32 v[8:9], v[14:15], v[8:9]
	v_cmp_lt_f32_e64 s5, v18, v40
	v_fma_f32 v15, -v11, v7, v39
	v_div_scale_f32 v32, null, v11, v11, v24
	v_fma_f32 v42, -v12, v34, 1.0
	s_delay_alu instid0(VALU_DEP_4)
	v_cndmask_b32_e64 v18, v40, v18, s5
	v_cmp_gt_f32_e64 s5, v26, v41
	v_add_f32_e32 v45, v13, v15
	v_fma_f32 v15, -v35, v27, 1.0
	v_div_scale_f32 v36, s3, v30, v11, v30
	v_div_scale_f32 v16, null, v13, v13, v22
	v_rcp_f32_e32 v38, v32
	s_delay_alu instid0(VALU_DEP_3) | instskip(SKIP_4) | instid1(VALU_DEP_2)
	v_dual_cndmask_b32 v26, v41, v26, s5 :: v_dual_fmac_f32 v27, v15, v27
	v_mul_f32_e32 v29, v29, v6
	v_div_scale_f32 v6, null, v11, v11, v8
	v_div_scale_f32 v41, null, v13, v13, v9
	v_rcp_f32_e32 v14, v16
	v_rcp_f32_e32 v47, v6
	v_div_scale_f32 v31, vcc_lo, v25, v11, v25
	s_delay_alu instid0(VALU_DEP_2) | instskip(SKIP_4) | instid1(VALU_DEP_4)
	v_rcp_f32_e32 v48, v41
	v_fma_f32 v43, -v32, v38, 1.0
	v_fmac_f32_e32 v34, v42, v34
	v_div_scale_f32 v33, s2, v24, v11, v24
	v_fma_f32 v42, -v16, v14, 1.0
	v_fmac_f32_e32 v38, v43, v38
	ds_swizzle_b32 v43, v18 offset:swizzle(BROADCAST,32,15)
	v_fma_f32 v53, -v6, v47, 1.0
	v_dual_mul_f32 v50, v31, v34 :: v_dual_mul_f32 v54, v36, v27
	v_fma_f32 v55, -v41, v48, 1.0
	v_div_scale_f32 v37, s4, v22, v13, v22
	v_div_scale_f32 v44, s6, v9, v13, v9
	ds_swizzle_b32 v46, v26 offset:swizzle(BROADCAST,32,15)
	v_dual_fmac_f32 v14, v42, v14 :: v_dual_fmac_f32 v48, v55, v48
	v_fmac_f32_e32 v47, v53, v47
	v_fma_f32 v42, -v12, v50, v31
	v_fma_f32 v55, -v35, v54, v36
	v_div_scale_f32 v49, null, v28, v28, v29
	v_div_scale_f32 v40, s5, v8, v11, v8
	s_delay_alu instid0(VALU_DEP_4) | instskip(NEXT) | instid1(VALU_DEP_4)
	v_fmac_f32_e32 v50, v42, v34
	v_dual_mul_f32 v53, v37, v14 :: v_dual_fmac_f32 v54, v55, v27
	v_mul_f32_e32 v15, v33, v38
	v_rcp_f32_e32 v52, v49
	v_mul_f32_e32 v55, v40, v47
	v_fma_f32 v12, -v12, v50, v31
	v_fma_f32 v31, -v16, v53, v37
	;; [unrolled: 1-line block ×3, first 2 shown]
	s_wait_dscnt 0x1
	v_cmp_lt_f32_e64 s8, v18, v43
	v_div_scale_f32 v51, s7, v29, v28, v29
	v_fmac_f32_e32 v53, v31, v14
	v_fmac_f32_e32 v15, v42, v38
	v_fma_f32 v42, -v49, v52, 1.0
	v_cndmask_b32_e64 v43, v43, v18, s8
	s_wait_dscnt 0x0
	v_cmp_gt_f32_e64 s8, v26, v46
	v_div_fmas_f32 v12, v12, v34, v50
	s_mov_b32 vcc_lo, s3
	v_dual_fmac_f32 v52, v42, v52 :: v_dual_fma_f32 v31, -v32, v15, v33
	v_dual_mul_f32 v42, v44, v48 :: v_dual_cndmask_b32 v46, v46, v26, s8
	v_fma_f32 v26, -v6, v55, v40
	v_dual_fma_f32 v18, -v35, v54, v36 :: v_dual_fma_f32 v34, -v16, v53, v37
	s_delay_alu instid0(VALU_DEP_3) | instskip(SKIP_1) | instid1(VALU_DEP_3)
	v_dual_fma_f32 v32, -v41, v42, v44 :: v_dual_mul_f32 v33, v51, v52
	v_div_fixup_f32 v12, v12, v11, v25
	v_div_fmas_f32 v16, v18, v27, v54
	s_delay_alu instid0(VALU_DEP_3) | instskip(NEXT) | instid1(VALU_DEP_3)
	v_dual_fmac_f32 v55, v26, v47 :: v_dual_fmac_f32 v42, v32, v48
	v_dual_fma_f32 v18, -v49, v33, v51 :: v_dual_add_f32 v12, v12, v20
	s_delay_alu instid0(VALU_DEP_3) | instskip(NEXT) | instid1(VALU_DEP_3)
	v_div_fixup_f32 v16, v16, v11, v30
	v_fma_f32 v6, -v6, v55, v40
	s_delay_alu instid0(VALU_DEP_3) | instskip(SKIP_1) | instid1(VALU_DEP_3)
	v_dual_fma_f32 v20, -v41, v42, v44 :: v_dual_fmac_f32 v33, v18, v52
	s_mov_b32 vcc_lo, s5
	v_add_f32_e32 v10, v10, v16
	s_delay_alu instid0(VALU_DEP_3)
	v_div_fmas_f32 v6, v6, v47, v55
	v_mov_b32_dpp v25, v12 quad_perm:[2,3,0,1] row_mask:0xf bank_mask:0xf
	v_fma_f32 v16, -v49, v33, v51
	s_mov_b32 vcc_lo, s6
	v_div_fmas_f32 v18, v20, v48, v42
	s_mov_b32 vcc_lo, s7
	v_div_fixup_f32 v20, v6, v11, v8
	v_mov_b32_dpp v6, v10 quad_perm:[2,3,0,1] row_mask:0xf bank_mask:0xf
	v_div_fmas_f32 v26, v16, v52, v33
	v_dual_mul_f32 v16, v10, v7 :: v_dual_sub_f32 v8, v12, v25
	s_mov_b32 vcc_lo, s4
	v_div_fixup_f32 v9, v18, v13, v9
	v_div_fmas_f32 v12, v34, v14, v53
	s_mov_b32 vcc_lo, s2
	v_div_fixup_f32 v26, v26, v28, v29
	v_div_fmas_f32 v27, v31, v38, v15
	v_pk_add_f32 v[14:15], v[10:11], v[6:7]
	v_dual_mul_f32 v18, v11, v6 :: v_dual_mul_f32 v28, v13, v6
	v_dual_mul_f32 v6, v8, v8 :: v_dual_mul_f32 v29, v11, v8
	v_dual_mul_f32 v30, 4.0, v8 :: v_dual_add_f32 v9, v23, v9
	v_div_fixup_f32 v22, v12, v13, v22
	v_pk_mul_f32 v[12:13], v[14:15], v[14:15]
	v_div_fixup_f32 v27, v27, v11, v24
	v_dual_add_f32 v23, v21, v26 :: v_dual_mul_f32 v24, v6, v7
	v_dual_fmac_f32 v28, v39, v10 :: v_dual_add_f32 v20, v20, v9
	v_mul_f32_e32 v12, v8, v6
	v_pk_add_f32 v[16:17], v[16:17], v[18:19] neg_lo:[0,1] neg_hi:[0,1]
	v_dual_mul_f32 v18, 0x40c00000, v6 :: v_dual_mov_b32 v21, v15
	v_div_scale_f32 v26, null, v15, v15, v29
	v_mov_b32_dpp v19, v15 row_ror:4 row_mask:0xf bank_mask:0xf
	v_dual_mov_b32 v6, v15 :: v_dual_mul_f32 v32, v15, v13
	v_mul_f32_e32 v33, v8, v12
	v_dual_mul_f32 v34, v11, v24 :: v_dual_mul_f32 v9, v12, v7
	v_mul_f32_e32 v12, v18, v28
	v_rcp_f32_e32 v18, v26
	v_dual_mov_b32 v10, v15 :: v_dual_add_f32 v22, v22, v23
	v_mov_b32_dpp v28, v20 quad_perm:[2,3,0,1] row_mask:0xf bank_mask:0xf
	v_mov_b32_e32 v23, v19
	v_div_scale_f32 v35, null, v13, v13, v12
	s_delay_alu instid0(VALU_DEP_4) | instskip(SKIP_3) | instid1(VALU_DEP_2)
	v_dual_mov_b32 v24, v13 :: v_dual_add_f32 v22, v27, v22
	v_pk_mul_f32 v[8:9], v[2:3], v[8:9]
	v_dual_mul_f32 v3, v33, v7 :: v_dual_add_f32 v37, v20, v28
	v_div_scale_f32 v27, null, v15, v15, v34
	v_dual_mul_f32 v28, v11, v28 :: v_dual_mul_f32 v3, v11, v3
	v_fma_f32 v38, -v26, v18, 1.0
	v_rcp_f32_e32 v40, v35
	v_div_scale_f32 v31, vcc_lo, v29, v15, v29
	v_mov_b32_dpp v39, v22 quad_perm:[2,3,0,1] row_mask:0xf bank_mask:0xf
	v_pk_mul_f32 v[8:9], v[8:9], v[16:17]
	v_rcp_f32_e32 v11, v27
	v_dual_fma_f32 v7, v20, v7, -v28 :: v_dual_fmac_f32 v18, v38, v18
	s_delay_alu instid0(VALU_DEP_3) | instskip(NEXT) | instid1(VALU_DEP_3)
	v_add_f32_e32 v28, v22, v39
	v_div_scale_f32 v16, null, v15, v15, v8
	v_fma_f32 v39, -v35, v40, 1.0
	s_delay_alu instid0(VALU_DEP_4)
	v_dual_mul_f32 v7, v30, v7 :: v_dual_mul_f32 v30, v31, v18
	v_mul_f32_e32 v3, v45, v3
	v_div_scale_f32 v20, null, v13, v13, v9
	v_fma_f32 v38, -v27, v11, 1.0
	v_rcp_f32_e32 v41, v16
	v_fma_f32 v47, -v26, v30, v31
	s_delay_alu instid0(VALU_DEP_3) | instskip(SKIP_2) | instid1(VALU_DEP_3)
	v_rcp_f32_e32 v42, v20
	v_div_scale_f32 v44, null, v32, v32, v3
	v_div_scale_f32 v33, s2, v34, v15, v34
	v_dual_fmac_f32 v11, v38, v11 :: v_dual_fmac_f32 v30, v47, v18
	v_fmac_f32_e32 v40, v39, v40
	v_div_scale_f32 v38, null, v15, v15, v7
	v_rcp_f32_e32 v48, v44
	v_div_scale_f32 v36, s3, v12, v13, v12
	v_mul_f32_e32 v47, v33, v11
	v_fma_f32 v49, -v16, v41, 1.0
	v_fma_f32 v50, -v20, v42, 1.0
	v_fma_f32 v26, -v26, v30, v31
	v_rcp_f32_e32 v31, v38
	v_div_scale_f32 v17, s4, v8, v15, v8
	v_dual_mul_f32 v51, v36, v40 :: v_dual_fmac_f32 v41, v49, v41
	v_dual_fma_f32 v49, -v27, v47, v33 :: v_dual_fmac_f32 v42, v50, v42
	v_fma_f32 v50, -v44, v48, 1.0
	v_div_scale_f32 v22, s5, v9, v13, v9
	v_div_fmas_f32 v18, v26, v18, v30
	v_fma_f32 v26, -v35, v51, v36
	v_fma_f32 v30, -v38, v31, 1.0
	v_dual_fmac_f32 v47, v49, v11 :: v_dual_fmac_f32 v48, v50, v48
	v_mul_f32_e32 v49, v17, v41
	v_div_scale_f32 v45, s6, v3, v32, v3
	v_mul_f32_e32 v50, v22, v42
	v_div_scale_f32 v39, s7, v7, v15, v7
	v_dual_fmac_f32 v51, v26, v40 :: v_dual_fma_f32 v26, -v27, v47, v33
	v_dual_fmac_f32 v31, v30, v31 :: v_dual_fma_f32 v27, -v16, v49, v17
	v_div_fixup_f32 v18, v18, v15, v29
	s_delay_alu instid0(VALU_DEP_3) | instskip(SKIP_2) | instid1(VALU_DEP_3)
	v_dual_mul_f32 v30, v45, v48 :: v_dual_fma_f32 v33, -v35, v51, v36
	v_fma_f32 v29, -v20, v50, v22
	s_mov_b32 vcc_lo, s2
	v_dual_mul_f32 v35, v39, v31 :: v_dual_add_f32 v18, v18, v25
	s_delay_alu instid0(VALU_DEP_2) | instskip(SKIP_1) | instid1(VALU_DEP_3)
	v_dual_fmac_f32 v49, v27, v41 :: v_dual_fmac_f32 v50, v29, v42
	v_div_fmas_f32 v11, v26, v11, v47
	v_dual_fma_f32 v25, -v44, v30, v45 :: v_dual_fma_f32 v26, -v38, v35, v39
	s_delay_alu instid0(VALU_DEP_3) | instskip(NEXT) | instid1(VALU_DEP_4)
	v_fma_f32 v16, -v16, v49, v17
	v_fma_f32 v17, -v20, v50, v22
	s_delay_alu instid0(VALU_DEP_4) | instskip(NEXT) | instid1(VALU_DEP_4)
	v_div_fixup_f32 v11, v11, v15, v34
	v_fmac_f32_e32 v30, v25, v48
	v_mov_b32_dpp v29, v18 row_ror:4 row_mask:0xf bank_mask:0xf
	s_mov_b32 vcc_lo, s4
	v_fmac_f32_e32 v35, v26, v31
	v_div_fmas_f32 v16, v16, v41, v49
	s_mov_b32 vcc_lo, s5
	v_dual_add_f32 v11, v14, v11 :: v_dual_fma_f32 v20, -v44, v30, v45
	v_sub_f32_e32 v14, v18, v29
	v_div_fmas_f32 v25, v17, v42, v50
	s_mov_b32 vcc_lo, s6
	v_div_fixup_f32 v27, v16, v15, v8
	v_div_fmas_f32 v8, v20, v48, v30
	v_mov_b32_dpp v18, v11 row_ror:4 row_mask:0xf bank_mask:0xf
	v_mul_f32_e32 v22, v11, v19
	v_dual_fma_f32 v26, -v38, v35, v39 :: v_dual_mul_f32 v30, v15, v14
	v_dual_mul_f32 v17, v14, v14 :: v_dual_mov_b32 v16, v14
	v_div_fixup_f32 v25, v25, v13, v9
	s_mov_b32 vcc_lo, s3
	v_div_fixup_f32 v3, v8, v32, v3
	v_div_fmas_f32 v33, v33, v40, v51
	s_mov_b32 vcc_lo, s7
	v_pk_mul_f32 v[8:9], v[18:19], v[18:19]
	v_div_fmas_f32 v26, v26, v31, v35
	v_dual_mul_f32 v31, v14, v17 :: v_dual_mul_f32 v32, v17, v19
	v_dual_mul_f32 v20, v15, v18 :: v_dual_add_f32 v8, v37, v25
	v_div_fixup_f32 v12, v33, v13, v12
	s_delay_alu instid0(VALU_DEP_4) | instskip(NEXT) | instid1(VALU_DEP_4)
	v_div_fixup_f32 v7, v26, v15, v7
	v_dual_add_f32 v26, v28, v3 :: v_dual_mul_f32 v32, v15, v32
	s_delay_alu instid0(VALU_DEP_4) | instskip(NEXT) | instid1(VALU_DEP_2)
	v_dual_mul_f32 v28, v14, v31 :: v_dual_add_f32 v25, v27, v8
	v_dual_mul_f32 v3, v31, v19 :: v_dual_add_f32 v26, v12, v26
	v_fma_f32 v31, -v15, v19, v9
	v_pk_add_f32 v[20:21], v[22:23], v[20:21] neg_lo:[0,1] neg_hi:[0,1]
	s_delay_alu instid0(VALU_DEP_4) | instskip(NEXT) | instid1(VALU_DEP_4)
	v_mov_b32_dpp v8, v25 row_ror:4 row_mask:0xf bank_mask:0xf
	v_pk_mul_f32 v[22:23], v[14:15], v[2:3]
	v_mul_f32_e32 v3, v28, v19
	v_dual_add_f32 v27, v13, v31 :: v_dual_mov_b32 v14, v11
	v_pk_mul_f32 v[12:13], v[24:25], v[18:19]
	v_dual_add_f32 v26, v7, v26 :: v_dual_add_f32 v25, v25, v8
	s_delay_alu instid0(VALU_DEP_4) | instskip(NEXT) | instid1(VALU_DEP_4)
	v_mul_f32_e32 v3, v15, v3
	v_pk_add_f32 v[14:15], v[14:15], v[18:19]
	s_delay_alu instid0(VALU_DEP_4)
	v_pk_fma_f32 v[6:7], v[6:7], v[8:9], v[12:13] op_sel:[0,0,1] op_sel_hi:[1,1,0] neg_lo:[1,0,0] neg_hi:[1,0,0]
	v_pk_fma_f32 v[8:9], v[10:11], v[8:9], v[12:13] op_sel:[0,0,1] op_sel_hi:[1,1,0]
	v_pk_mul_f32 v[16:17], v[16:17], v[4:5]
	v_pk_mul_f32 v[20:21], v[22:23], v[20:21]
	v_div_scale_f32 v12, null, v15, v15, v30
	v_div_scale_f32 v28, null, v15, v15, v32
	v_mov_b32_e32 v8, v15
	v_dual_mul_f32 v3, v27, v3 :: v_dual_mov_b32 v7, v9
	v_mov_b32_dpp v10, v15 row_ror:8 row_mask:0xf bank_mask:0xf
	v_dual_mov_b32 v13, v15 :: v_dual_mov_b32 v18, v15
	v_div_scale_f32 v33, null, v15, v15, v20
	v_rcp_f32_e32 v9, v12
	v_rcp_f32_e32 v35, v28
	v_dual_mov_b32 v19, v10 :: v_dual_mov_b32 v27, v10
	v_pk_mul_f32 v[6:7], v[16:17], v[6:7]
	v_mov_b32_dpp v11, v26 row_ror:4 row_mask:0xf bank_mask:0xf
	v_rcp_f32_e32 v36, v33
	s_delay_alu instid0(VALU_DEP_3) | instskip(SKIP_2) | instid1(VALU_DEP_3)
	v_pk_mul_f32 v[16:17], v[18:19], v[18:19]
	v_div_scale_f32 v23, vcc_lo, v30, v15, v30
	v_div_scale_f32 v39, null, v15, v15, v6
	v_dual_add_f32 v37, v26, v11 :: v_dual_mul_f32 v41, v15, v16
	v_fma_f32 v11, -v12, v9, 1.0
	v_fma_f32 v26, -v28, v35, 1.0
	v_div_scale_f32 v42, null, v16, v16, v21
	v_rcp_f32_e32 v45, v39
	v_div_scale_f32 v31, s2, v32, v15, v32
	v_fma_f32 v38, -v33, v36, 1.0
	v_dual_fmac_f32 v9, v11, v9 :: v_dual_fmac_f32 v35, v26, v35
	v_rcp_f32_e32 v11, v42
	v_div_scale_f32 v34, s3, v20, v15, v20
	v_div_scale_f32 v44, null, v16, v16, v7
	s_delay_alu instid0(VALU_DEP_3)
	v_dual_fmac_f32 v36, v38, v36 :: v_dual_mul_f32 v26, v23, v9
	v_mul_f32_e32 v47, v31, v35
	v_fma_f32 v48, -v39, v45, 1.0
	v_div_scale_f32 v38, null, v41, v41, v3
	v_rcp_f32_e32 v49, v44
	v_dual_fma_f32 v50, -v12, v26, v23 :: v_dual_mul_f32 v51, v34, v36
	v_fma_f32 v52, -v28, v47, v31
	v_fmac_f32_e32 v45, v48, v45
	v_fma_f32 v48, -v42, v11, 1.0
	s_delay_alu instid0(VALU_DEP_4)
	v_fmac_f32_e32 v26, v50, v9
	v_fma_f32 v50, -v33, v51, v34
	v_fmac_f32_e32 v47, v52, v35
	v_fma_f32 v52, -v44, v49, 1.0
	v_fmac_f32_e32 v11, v48, v11
	v_rcp_f32_e32 v48, v38
	v_div_scale_f32 v40, s4, v6, v15, v6
	s_delay_alu instid0(VALU_DEP_3) | instskip(SKIP_1) | instid1(VALU_DEP_2)
	v_dual_fmac_f32 v51, v50, v36 :: v_dual_fmac_f32 v49, v52, v49
	v_div_scale_f32 v50, s5, v21, v16, v21
	v_dual_fma_f32 v12, -v12, v26, v23 :: v_dual_fma_f32 v33, -v33, v51, v34
	s_delay_alu instid0(TRANS32_DEP_1) | instskip(SKIP_1) | instid1(VALU_DEP_3)
	v_fma_f32 v23, -v38, v48, 1.0
	v_div_scale_f32 v52, s6, v7, v16, v7
	v_div_fmas_f32 v9, v12, v9, v26
	s_mov_b32 vcc_lo, s2
	s_delay_alu instid0(VALU_DEP_3) | instskip(SKIP_3) | instid1(VALU_DEP_4)
	v_dual_fmac_f32 v48, v23, v48 :: v_dual_mul_f32 v34, v40, v45
	v_mul_f32_e32 v53, v50, v11
	v_fma_f32 v28, -v28, v47, v31
	v_div_scale_f32 v31, s7, v3, v41, v3
	v_dual_mul_f32 v54, v52, v49 :: v_dual_fma_f32 v12, -v39, v34, v40
	s_delay_alu instid0(VALU_DEP_3) | instskip(NEXT) | instid1(VALU_DEP_3)
	v_div_fmas_f32 v23, v28, v35, v47
	v_dual_mul_f32 v47, v31, v48 :: v_dual_fma_f32 v26, -v42, v53, v50
	s_delay_alu instid0(VALU_DEP_3) | instskip(NEXT) | instid1(VALU_DEP_4)
	v_fma_f32 v35, -v44, v54, v52
	v_fmac_f32_e32 v34, v12, v45
	v_div_fixup_f32 v12, v9, v15, v30
	s_delay_alu instid0(VALU_DEP_4) | instskip(NEXT) | instid1(VALU_DEP_4)
	v_dual_mov_b32 v28, v17 :: v_dual_fmac_f32 v53, v26, v11
	v_dual_fma_f32 v26, -v38, v47, v31 :: v_dual_fmac_f32 v54, v35, v49
	v_div_fixup_f32 v23, v23, v15, v32
	v_dual_fma_f32 v32, -v39, v34, v40 :: v_dual_mov_b32 v9, v16
	s_delay_alu instid0(VALU_DEP_3) | instskip(SKIP_3) | instid1(VALU_DEP_3)
	v_dual_add_f32 v12, v12, v29 :: v_dual_fmac_f32 v47, v26, v48
	v_fma_f32 v29, -v42, v53, v50
	s_mov_b32 vcc_lo, s5
	v_dual_fma_f32 v35, -v44, v54, v52 :: v_dual_add_f32 v23, v14, v23
	v_mov_b32_dpp v39, v12 row_ror:8 row_mask:0xf bank_mask:0xf
	s_delay_alu instid0(VALU_DEP_3)
	v_div_fmas_f32 v29, v29, v11, v53
	v_fma_f32 v30, -v38, v47, v31
	s_mov_b32 vcc_lo, s3
	v_mov_b32_dpp v11, v23 row_ror:8 row_mask:0xf bank_mask:0xf
	v_div_fmas_f32 v33, v33, v36, v51
	s_mov_b32 vcc_lo, s7
	v_dual_mov_b32 v22, v15 :: v_dual_mov_b32 v24, v15
	v_div_fixup_f32 v36, v29, v16, v21
	v_dual_sub_f32 v12, v12, v39 :: v_dual_mul_f32 v26, v23, v10
	v_div_fmas_f32 v38, v30, v48, v47
	s_mov_b32 vcc_lo, s4
	v_pk_mul_f32 v[30:31], v[14:15], v[10:11]
	v_div_fmas_f32 v32, v32, v45, v34
	s_mov_b32 vcc_lo, s6
	v_div_fixup_f32 v30, v33, v15, v20
	v_pk_fma_f32 v[20:21], v[8:9], v[10:11], v[28:29] neg_lo:[1,0,0] neg_hi:[1,0,0]
	v_pk_add_f32 v[28:29], v[22:23], v[10:11]
	v_div_fmas_f32 v8, v35, v49, v54
	v_add_f32_e32 v36, v25, v36
	v_dual_mul_f32 v35, v12, v12 :: v_dual_mul_f32 v40, v15, v12
	v_div_fixup_f32 v3, v38, v41, v3
	s_delay_alu instid0(VALU_DEP_4) | instskip(NEXT) | instid1(VALU_DEP_3)
	v_div_fixup_f32 v7, v8, v16, v7
	v_dual_add_f32 v8, v30, v36 :: v_dual_mul_f32 v16, v12, v35
	s_delay_alu instid0(VALU_DEP_4) | instskip(SKIP_2) | instid1(VALU_DEP_4)
	v_div_scale_f32 v36, null, v28, v28, v40
	v_pk_fma_f32 v[18:19], v[18:19], v[18:19], v[20:21]
	v_dual_mov_b32 v19, v28 :: v_dual_mul_f32 v20, v35, v10
	v_dual_add_f32 v30, v37, v3 :: v_dual_mul_f32 v38, v12, v16
	s_delay_alu instid0(VALU_DEP_4)
	v_rcp_f32_e32 v42, v36
	v_dual_mov_b32 v14, v31 :: v_dual_mov_b32 v25, v28
	v_div_fixup_f32 v32, v32, v15, v6
	v_dual_mul_f32 v3, v16, v10 :: v_dual_mul_f32 v41, v15, v20
	v_mov_b32_dpp v16, v8 row_ror:8 row_mask:0xf bank_mask:0xf
	v_dual_add_f32 v7, v7, v30 :: v_dual_mov_b32 v21, v28
	v_mov_b32_e32 v31, v28
	v_pk_add_f32 v[26:27], v[26:27], v[14:15] neg_lo:[0,1] neg_hi:[0,1]
	v_pk_mul_f32 v[14:15], v[12:13], v[2:3]
	v_dual_mul_f32 v20, v38, v10 :: v_dual_add_f32 v38, v8, v16
	v_dual_add_f32 v7, v32, v7 :: v_dual_mov_b32 v13, v35
	v_mov_b32_e32 v3, v28
	v_pk_mul_f32 v[16:17], v[22:23], v[16:17]
	v_div_scale_f32 v35, null, v28, v28, v41
	v_fma_f32 v30, -v36, v42, 1.0
	v_div_scale_f32 v37, vcc_lo, v40, v28, v40
	v_pk_mul_f32 v[14:15], v[14:15], v[26:27]
	v_mov_b32_dpp v26, v7 row_ror:8 row_mask:0xf bank_mask:0xf
	v_pk_fma_f32 v[22:23], v[8:9], v[10:11], v[16:17] neg_lo:[0,0,1] neg_hi:[0,0,1]
	v_pk_fma_f32 v[8:9], v[8:9], v[10:11], v[16:17]
	v_pk_mul_f32 v[10:11], v[24:25], v[20:21]
	v_rcp_f32_e32 v16, v35
	v_fmac_f32_e32 v42, v30, v42
	v_pk_mul_f32 v[12:13], v[12:13], v[4:5]
	v_mov_b32_e32 v23, v9
	v_pk_mul_f32 v[8:9], v[18:19], v[10:11]
	v_div_scale_f32 v18, null, v28, v28, v14
	v_dual_mov_b32 v32, v11 :: v_dual_mul_f32 v21, v37, v42
	v_add_f32_e32 v20, v7, v26
	v_div_scale_f32 v7, null, v11, v11, v15
	v_fma_f32 v24, -v35, v16, 1.0
	v_pk_mul_f32 v[12:13], v[12:13], v[22:23]
	v_rcp_f32_e32 v23, v18
	s_delay_alu instid0(VALU_DEP_3) | instskip(SKIP_4) | instid1(VALU_DEP_4)
	v_rcp_f32_e32 v22, v7
	v_div_scale_f32 v25, null, v9, v9, v8
	v_div_scale_f32 v44, s2, v41, v28, v41
	v_fma_f32 v27, -v36, v21, v37
	v_fmac_f32_e32 v16, v24, v16
	v_rcp_f32_e32 v24, v25
	v_div_scale_f32 v48, null, v11, v11, v13
	s_delay_alu instid0(VALU_DEP_3)
	v_fmac_f32_e32 v21, v27, v42
	v_fma_f32 v50, -v7, v22, 1.0
	v_mul_f32_e32 v27, v44, v16
	v_fma_f32 v51, -v18, v23, 1.0
	v_div_scale_f32 v45, null, v28, v28, v12
	v_rcp_f32_e32 v53, v48
	v_div_scale_f32 v10, s3, v15, v11, v15
	v_div_scale_f32 v19, s4, v14, v28, v14
	v_dual_fmac_f32 v22, v50, v22 :: v_dual_fma_f32 v36, -v36, v21, v37
	v_fma_f32 v37, -v35, v27, v44
	v_fmac_f32_e32 v23, v51, v23
	v_fma_f32 v50, -v25, v24, 1.0
	v_rcp_f32_e32 v52, v45
	v_div_fmas_f32 v21, v36, v42, v21
	v_dual_mul_f32 v36, v10, v22 :: v_dual_fmac_f32 v27, v37, v16
	s_delay_alu instid0(VALU_DEP_3)
	v_dual_mul_f32 v37, v19, v23 :: v_dual_fmac_f32 v24, v50, v24
	v_fma_f32 v50, -v48, v53, 1.0
	v_div_scale_f32 v26, s5, v8, v9, v8
	v_div_scale_f32 v49, s7, v13, v11, v13
	v_fma_f32 v42, -v45, v52, 1.0
	v_div_fixup_f32 v21, v21, v28, v40
	v_dual_fma_f32 v35, -v35, v27, v44 :: v_dual_fma_f32 v44, -v18, v37, v19
	v_dual_fma_f32 v40, -v7, v36, v10 :: v_dual_fmac_f32 v53, v50, v53
	s_mov_b32 vcc_lo, s2
	s_delay_alu instid0(VALU_DEP_2) | instskip(SKIP_1) | instid1(VALU_DEP_3)
	v_dual_fmac_f32 v52, v42, v52 :: v_dual_fmac_f32 v37, v44, v23
	v_dual_add_f32 v21, v21, v39 :: v_dual_mul_f32 v51, v26, v24
	v_fmac_f32_e32 v36, v40, v22
	v_div_fmas_f32 v16, v35, v16, v27
	v_mul_f32_e32 v39, v49, v53
	ds_swizzle_b32 v6, v28 offset:swizzle(BROADCAST,32,15)
	v_div_scale_f32 v47, s6, v12, v28, v12
	v_fma_f32 v27, -v25, v51, v26
	v_div_fixup_f32 v16, v16, v28, v41
	v_dual_fma_f32 v7, -v7, v36, v10 :: v_dual_fma_f32 v10, -v18, v37, v19
	s_delay_alu instid0(VALU_DEP_4) | instskip(NEXT) | instid1(VALU_DEP_3)
	v_dual_fma_f32 v19, -v48, v39, v49 :: v_dual_mul_f32 v35, v47, v52
	v_add_f32_e32 v40, v29, v16
	s_mov_b32 vcc_lo, s3
	v_dual_mov_b32 v33, v28 :: v_dual_mov_b32 v34, v28
	s_delay_alu instid0(VALU_DEP_3)
	v_fmac_f32_e32 v39, v19, v53
	v_fmac_f32_e32 v51, v27, v24
	v_fma_f32 v18, -v45, v35, v47
	v_div_fmas_f32 v7, v7, v22, v36
	s_mov_b32 vcc_lo, s4
	v_fma_f32 v19, -v48, v39, v49
	v_fma_f32 v16, -v25, v51, v26
	ds_swizzle_b32 v27, v21 offset:swizzle(BROADCAST,32,15)
	v_div_fmas_f32 v10, v10, v23, v37
	s_mov_b32 vcc_lo, s5
	v_div_fixup_f32 v15, v7, v11, v15
	v_div_fmas_f32 v16, v16, v24, v51
	ds_swizzle_b32 v7, v40 offset:swizzle(BROADCAST,32,15)
	v_div_fixup_f32 v10, v10, v28, v14
	s_mov_b32 vcc_lo, s6
	s_wait_dscnt 0x2
	v_dual_mov_b32 v30, v6 :: v_dual_mov_b32 v17, v6
	v_div_fixup_f32 v9, v16, v9, v8
	v_dual_mul_f32 v16, v40, v6 :: v_dual_fmac_f32 v35, v18, v52
	s_delay_alu instid0(VALU_DEP_2) | instskip(NEXT) | instid1(VALU_DEP_1)
	v_dual_add_f32 v14, v38, v15 :: v_dual_add_f32 v9, v20, v9
	v_dual_fma_f32 v18, -v45, v35, v47 :: v_dual_add_f32 v10, v10, v14
	s_wait_dscnt 0x1
	v_sub_f32_e32 v8, v21, v27
	s_delay_alu instid0(VALU_DEP_2) | instskip(SKIP_2) | instid1(VALU_DEP_2)
	v_div_fmas_f32 v15, v18, v52, v35
	s_mov_b32 vcc_lo, s7
	v_div_fmas_f32 v18, v19, v53, v39
	v_div_fixup_f32 v19, v15, v28, v12
	ds_swizzle_b32 v12, v10 offset:swizzle(BROADCAST,32,15)
	s_wait_dscnt 0x1
	v_pk_mul_f32 v[14:15], v[30:31], v[6:7] op_sel_hi:[1,0]
	v_div_fixup_f32 v13, v18, v11, v13
	v_dual_mov_b32 v18, v7 :: v_dual_mul_f32 v21, v8, v8
	s_delay_alu instid0(VALU_DEP_2) | instskip(NEXT) | instid1(VALU_DEP_2)
	v_dual_mov_b32 v20, v15 :: v_dual_add_f32 v9, v13, v9
	v_dual_mul_f32 v22, v28, v8 :: v_dual_mul_f32 v23, v21, v6
	v_mul_f32_e32 v13, v8, v21
	s_delay_alu instid0(VALU_DEP_3) | instskip(SKIP_2) | instid1(VALU_DEP_4)
	v_add_f32_e32 v24, v19, v9
	v_pk_mul_f32 v[18:19], v[28:29], v[18:19]
	v_mov_b32_e32 v19, v28
	v_dual_mul_f32 v25, v8, v13 :: v_dual_mul_f32 v9, v13, v6
	v_dual_mov_b32 v29, v40 :: v_dual_mov_b32 v13, v14
	v_pk_fma_f32 v[14:15], v[30:31], v[6:7], v[20:21] op_sel_hi:[1,0,1] neg_lo:[0,0,1] neg_hi:[0,0,1]
	v_mov_b32_e32 v15, v6
	s_delay_alu instid0(VALU_DEP_4)
	v_pk_mul_f32 v[2:3], v[2:3], v[8:9]
	v_pk_add_f32 v[16:17], v[16:17], v[18:19] neg_lo:[0,1] neg_hi:[0,1]
	v_mul_f32_e32 v23, v28, v23
	s_wait_dscnt 0x0
	v_pk_mul_f32 v[18:19], v[28:29], v[12:13]
	v_pk_add_f32 v[14:15], v[32:33], v[14:15]
	v_mov_b32_e32 v9, v21
	v_pk_mul_f32 v[2:3], v[2:3], v[16:17]
	v_mul_f32_e32 v20, v25, v6
	v_pk_fma_f32 v[16:17], v[10:11], v[6:7], v[18:19]
	v_mov_b32_e32 v35, v15
	v_pk_mul_f32 v[4:5], v[8:9], v[4:5]
	v_pk_fma_f32 v[8:9], v[10:11], v[6:7], v[18:19] neg_lo:[0,0,1] neg_hi:[0,0,1]
	v_div_scale_f32 v6, null, v15, v15, v22
	v_div_scale_f32 v13, null, v15, v15, v23
	v_mov_b32_e32 v21, v15
	v_div_scale_f32 v19, null, v15, v15, v2
	s_delay_alu instid0(VALU_DEP_4) | instskip(SKIP_1) | instid1(VALU_DEP_3)
	v_rcp_f32_e32 v28, v6
	v_mov_b32_e32 v9, v17
	v_pk_mul_f32 v[16:17], v[34:35], v[20:21]
	v_rcp_f32_e32 v20, v13
	v_rcp_f32_e32 v21, v19
	v_div_scale_f32 v11, vcc_lo, v22, v15, v22
	v_pk_mul_f32 v[4:5], v[4:5], v[8:9]
	v_div_scale_f32 v29, null, v17, v17, v3
	v_pk_mul_f32 v[8:9], v[14:15], v[16:17]
	v_fma_f32 v14, -v6, v28, 1.0
	v_fma_f32 v16, -v13, v20, 1.0
	v_fma_f32 v31, -v19, v21, 1.0
	v_div_scale_f32 v32, null, v15, v15, v4
	v_div_scale_f32 v34, null, v17, v17, v5
	v_rcp_f32_e32 v35, v29
	v_div_scale_f32 v36, null, v9, v9, v8
	v_div_scale_f32 v18, s2, v23, v15, v23
	v_div_scale_f32 v25, s3, v2, v15, v2
	v_fmac_f32_e32 v28, v14, v28
	v_dual_fmac_f32 v20, v16, v20 :: v_dual_fmac_f32 v21, v31, v21
	v_rcp_f32_e32 v14, v32
	v_rcp_f32_e32 v16, v34
	;; [unrolled: 1-line block ×3, first 2 shown]
	s_delay_alu instid0(VALU_DEP_1)
	v_dual_mul_f32 v38, v11, v28 :: v_dual_mul_f32 v42, v25, v21
	v_fma_f32 v41, -v29, v35, 1.0
	v_mul_f32_e32 v39, v18, v20
	v_div_scale_f32 v30, s4, v3, v17, v3
	v_fma_f32 v44, -v32, v14, 1.0
	v_fma_f32 v45, -v34, v16, 1.0
	v_fmac_f32_e32 v35, v41, v35
	v_dual_fma_f32 v47, -v6, v38, v11 :: v_dual_fma_f32 v48, -v13, v39, v18
	s_delay_alu instid0(VALU_DEP_3) | instskip(SKIP_3) | instid1(VALU_DEP_3)
	v_dual_fma_f32 v41, -v19, v42, v25 :: v_dual_fmac_f32 v16, v45, v16
	v_fma_f32 v49, -v36, v31, 1.0
	v_div_scale_f32 v37, s6, v8, v9, v8
	v_dual_fmac_f32 v14, v44, v14 :: v_dual_mul_f32 v44, v30, v35
	v_dual_fmac_f32 v38, v47, v28 :: v_dual_fmac_f32 v31, v49, v31
	v_dual_fmac_f32 v39, v48, v20 :: v_dual_fmac_f32 v42, v41, v21
	v_div_scale_f32 v33, s5, v4, v15, v4
	s_delay_alu instid0(VALU_DEP_2) | instskip(NEXT) | instid1(VALU_DEP_3)
	v_dual_fma_f32 v6, -v6, v38, v11 :: v_dual_fma_f32 v11, -v13, v39, v18
	v_dual_fma_f32 v13, -v29, v44, v30 :: v_dual_fma_f32 v18, -v19, v42, v25
	v_mul_f32_e32 v19, v37, v31
	v_div_scale_f32 v25, s7, v5, v17, v5
	v_mul_f32_e32 v41, v33, v14
	v_div_fmas_f32 v6, v6, v28, v38
	s_delay_alu instid0(VALU_DEP_3)
	v_dual_add_f32 v7, v40, v7 :: v_dual_mul_f32 v28, v25, v16
	v_fmac_f32_e32 v44, v13, v35
	v_fma_f32 v13, -v36, v19, v37
	ds_swizzle_b32 v26, v24 offset:swizzle(BROADCAST,32,15)
	s_mov_b32 vcc_lo, s2
	v_add_f32_e32 v10, v10, v12
	v_div_fmas_f32 v11, v11, v20, v39
	v_dual_fmac_f32 v19, v13, v31 :: v_dual_fma_f32 v13, -v32, v41, v33
	s_mov_b32 vcc_lo, s4
	v_div_fixup_f32 v6, v6, v15, v22
	s_mov_b32 s2, exec_lo
	s_delay_alu instid0(VALU_DEP_2) | instskip(SKIP_3) | instid1(VALU_DEP_3)
	v_fmac_f32_e32 v41, v13, v14
	v_fma_f32 v20, -v29, v44, v30
	v_fma_f32 v29, -v34, v28, v25
	v_add_f32_e32 v6, v6, v27
	v_div_fmas_f32 v20, v20, v35, v44
	s_mov_b32 vcc_lo, s3
	s_delay_alu instid0(VALU_DEP_3) | instskip(SKIP_4) | instid1(VALU_DEP_3)
	v_fmac_f32_e32 v28, v29, v16
	v_div_fmas_f32 v18, v18, v21, v42
	v_fma_f32 v21, -v36, v19, v37
	s_mov_b32 vcc_lo, s6
	v_div_fixup_f32 v3, v20, v17, v3
	v_div_fixup_f32 v2, v18, v15, v2
	s_delay_alu instid0(VALU_DEP_3)
	v_div_fmas_f32 v13, v21, v31, v19
	v_fma_f32 v21, -v32, v41, v33
	s_wait_dscnt 0x0
	v_add_f32_e32 v19, v24, v26
	s_mov_b32 vcc_lo, s5
	v_add_f32_e32 v3, v10, v3
	v_div_fixup_f32 v8, v13, v9, v8
	v_fma_f32 v9, -v34, v28, v25
	v_div_fmas_f32 v13, v21, v14, v41
	s_mov_b32 vcc_lo, s7
	s_delay_alu instid0(VALU_DEP_3) | instskip(NEXT) | instid1(VALU_DEP_3)
	v_dual_add_f32 v3, v2, v3 :: v_dual_add_f32 v8, v19, v8
	v_div_fmas_f32 v9, v9, v16, v28
	s_delay_alu instid0(VALU_DEP_3) | instskip(NEXT) | instid1(VALU_DEP_2)
	v_div_fixup_f32 v4, v13, v15, v4
	v_div_fixup_f32 v5, v9, v17, v5
	;; [unrolled: 1-line block ×3, first 2 shown]
	s_delay_alu instid0(VALU_DEP_2) | instskip(NEXT) | instid1(VALU_DEP_2)
	v_dual_add_f32 v5, v5, v8 :: v_dual_mov_b32 v8, 0
	v_add_f32_e32 v7, v7, v9
	s_delay_alu instid0(VALU_DEP_2)
	v_add_f32_e32 v4, v4, v5
	ds_bpermute_b32 v2, v8, v15 offset:124
	ds_bpermute_b32 v14, v8, v43 offset:124
	;; [unrolled: 1-line block ×7, first 2 shown]
	v_cmpx_eq_u32_e32 0, v1
	s_cbranch_execz .LBB9_94
; %bb.93:
	v_lshrrev_b32_e32 v3, 5, v0
	s_delay_alu instid0(VALU_DEP_1)
	v_mul_u32_u24_e32 v3, 28, v3
	s_wait_dscnt 0x5
	ds_store_2addr_b32 v3, v2, v14 offset0:56 offset1:57
	s_wait_dscnt 0x4
	ds_store_2addr_b32 v3, v15, v5 offset0:58 offset1:59
	;; [unrolled: 2-line block ×3, first 2 shown]
	s_wait_dscnt 0x3
	ds_store_b32 v3, v4 offset:248
.LBB9_94:
	s_or_b32 exec_lo, exec_lo, s2
	s_delay_alu instid0(SALU_CYCLE_1)
	s_mov_b32 s7, exec_lo
	s_wait_dscnt 0x0
	s_barrier_signal -1
	s_barrier_wait -1
	v_cmpx_gt_u32_e32 32, v0
	s_cbranch_execz .LBB9_96
; %bb.95:
	v_dual_lshlrev_b32 v18, 2, v1 :: v_dual_bitop2_b32 v11, 7, v1 bitop3:0x40
	v_mov_b32_e32 v16, 4.0
	v_mov_b64_e32 v[12:13], 0x40c0000040800000
	s_delay_alu instid0(VALU_DEP_3) | instskip(SKIP_1) | instid1(VALU_DEP_1)
	v_cmp_ne_u32_e32 vcc_lo, 7, v11
	v_add_co_ci_u32_e64 v8, null, 0, v1, vcc_lo
	v_lshlrev_b32_e32 v8, 2, v8
	v_mul_u32_u24_e32 v6, 28, v11
	v_cmp_gt_u32_e32 vcc_lo, 6, v11
	ds_load_2addr_b32 v[2:3], v6 offset0:56 offset1:59
	ds_load_b32 v15, v6 offset:248
	ds_load_2addr_b32 v[4:5], v6 offset0:57 offset1:58
	ds_load_2addr_b32 v[6:7], v6 offset0:60 offset1:61
	v_cndmask_b32_e64 v11, 0, 2, vcc_lo
	v_or_b32_e32 v31, 16, v18
	v_mov_b32_e32 v14, 0x40400000
	s_delay_alu instid0(VALU_DEP_3)
	v_add_lshl_u32 v33, v11, v1, 2
	s_wait_dscnt 0x3
	ds_bpermute_b32 v17, v8, v3
	s_wait_dscnt 0x3
	ds_bpermute_b32 v22, v8, v15
	;; [unrolled: 2-line block ×3, first 2 shown]
	ds_bpermute_b32 v26, v8, v4
	ds_bpermute_b32 v9, v8, v2
	s_wait_dscnt 0x5
	ds_bpermute_b32 v10, v8, v7
	ds_bpermute_b32 v8, v8, v6
	v_dual_mul_f32 v18, v2, v2 :: v_dual_mov_b32 v23, v2
	v_dual_mov_b32 v19, v7 :: v_dual_mov_b32 v20, v6
	s_wait_dscnt 0x6
	v_dual_mov_b32 v21, v2 :: v_dual_sub_f32 v24, v17, v3
	s_wait_dscnt 0x4
	v_cmp_lt_f32_e32 vcc_lo, v5, v25
	s_wait_dscnt 0x2
	v_dual_add_f32 v35, v15, v22 :: v_dual_fma_f32 v11, -v2, v9, v18
	s_wait_dscnt 0x1
	v_add_f32_e32 v17, v7, v10
	s_wait_dscnt 0x0
	v_pk_add_f32 v[20:21], v[20:21], v[8:9]
	v_cndmask_b32_e32 v38, v5, v25, vcc_lo
	v_cmp_lt_f32_e32 vcc_lo, v26, v4
	v_mul_f32_e32 v25, v24, v24
	v_pk_mul_f32 v[28:29], v[8:9], v[8:9]
	v_mul_f32_e32 v22, v2, v8
	v_pk_mul_f32 v[18:19], v[18:19], v[8:9]
	v_dual_cndmask_b32 v39, v4, v26 :: v_dual_mov_b32 v4, v9
	v_mul_f32_e32 v27, v24, v9
	v_dual_mul_f32 v8, v2, v25 :: v_dual_mul_f32 v28, v24, v25
	v_pk_mul_f32 v[12:13], v[24:25], v[12:13]
	s_delay_alu instid0(VALU_DEP_4) | instskip(NEXT) | instid1(VALU_DEP_3)
	v_pk_mul_f32 v[4:5], v[6:7], v[4:5]
	v_dual_mov_b32 v5, v9 :: v_dual_mul_f32 v7, v8, v9
	s_delay_alu instid0(VALU_DEP_4) | instskip(SKIP_2) | instid1(VALU_DEP_4)
	v_mul_f32_e32 v25, v2, v28
	v_div_scale_f32 v32, null, v21, v21, v27
	v_dual_mov_b32 v15, v9 :: v_dual_mov_b32 v26, v9
	v_div_scale_f32 v34, null, v21, v21, v7
	s_delay_alu instid0(VALU_DEP_3) | instskip(SKIP_1) | instid1(VALU_DEP_3)
	v_rcp_f32_e32 v36, v32
	v_pk_add_f32 v[4:5], v[22:23], v[4:5] neg_lo:[0,1] neg_hi:[0,1]
	v_pk_mul_f32 v[8:9], v[24:25], v[14:15]
	s_delay_alu instid0(VALU_DEP_3) | instskip(SKIP_2) | instid1(TRANS32_DEP_2)
	v_rcp_f32_e32 v22, v34
	v_div_scale_f32 v15, s2, v27, v21, v27
	v_div_scale_f32 v37, vcc_lo, v7, v21, v7
	v_fma_f32 v25, -v32, v36, 1.0
	v_pk_mul_f32 v[8:9], v[8:9], v[4:5]
	s_delay_alu instid0(TRANS32_DEP_1)
	v_fma_f32 v4, -v34, v22, 1.0
	v_mov_b32_e32 v23, v21
	ds_bpermute_b32 v5, v33, v21
	v_fmac_f32_e32 v36, v25, v36
	v_dual_mov_b32 v25, v21 :: v_dual_fmac_f32 v22, v4, v22
	v_div_scale_f32 v42, null, v21, v21, v8
	s_delay_alu instid0(VALU_DEP_3) | instskip(SKIP_1) | instid1(VALU_DEP_3)
	v_dual_mul_f32 v45, v15, v36 :: v_dual_add_f32 v4, v29, v11
	v_mov_b32_e32 v11, v29
	v_rcp_f32_e32 v43, v42
	v_div_scale_f32 v48, s3, v8, v21, v8
	s_delay_alu instid0(VALU_DEP_3)
	v_dual_fma_f32 v46, -v32, v45, v15 :: v_dual_mul_f32 v44, v37, v22
	v_mul_f32_e32 v24, v24, v28
	ds_bpermute_b32 v40, v33, v39
	v_fma_f32 v47, -v42, v43, 1.0
	v_dual_fmac_f32 v45, v46, v36 :: v_dual_mov_b32 v29, v21
	v_fma_f32 v30, -v34, v44, v37
	s_delay_alu instid0(VALU_DEP_3) | instskip(NEXT) | instid1(VALU_DEP_3)
	v_dual_mul_f32 v24, v2, v24 :: v_dual_fmac_f32 v43, v47, v43
	v_fma_f32 v15, -v32, v45, v15
	ds_bpermute_b32 v41, v33, v38
	v_dual_fmac_f32 v44, v30, v22 :: v_dual_mov_b32 v30, v21
	s_wait_dscnt 0x2
	v_dual_mul_f32 v46, v48, v43 :: v_dual_mov_b32 v32, v5
	s_delay_alu instid0(VALU_DEP_2) | instskip(NEXT) | instid1(VALU_DEP_1)
	v_fma_f32 v28, -v34, v44, v37
	v_div_fmas_f32 v22, v28, v22, v44
	s_mov_b32 vcc_lo, s2
	v_div_fmas_f32 v15, v15, v36, v45
	s_delay_alu instid0(VALU_DEP_2) | instskip(SKIP_1) | instid1(VALU_DEP_3)
	v_div_fixup_f32 v22, v22, v21, v7
	v_dual_fma_f32 v7, -v42, v46, v48 :: v_dual_sub_f32 v44, v21, v5
	v_div_fixup_f32 v15, v15, v21, v27
	v_mov_b32_e32 v34, v5
	s_delay_alu instid0(VALU_DEP_4) | instskip(NEXT) | instid1(VALU_DEP_4)
	v_pk_mul_f32 v[36:37], v[20:21], v[22:23]
	v_fmac_f32_e32 v46, v7, v43
	s_delay_alu instid0(VALU_DEP_4) | instskip(NEXT) | instid1(VALU_DEP_3)
	v_dual_add_f32 v28, v3, v15 :: v_dual_mov_b32 v3, v6
	v_mov_b32_e32 v27, v37
	v_div_scale_f32 v45, null, v37, v37, v9
	v_pk_add_f32 v[6:7], v[20:21], v[22:23]
	s_delay_alu instid0(VALU_DEP_4) | instskip(NEXT) | instid1(VALU_DEP_4)
	v_pk_fma_f32 v[22:23], v[2:3], v[10:11], v[18:19] op_sel:[0,0,1] op_sel_hi:[1,1,0]
	v_pk_mul_f32 v[24:25], v[24:25], v[26:27]
	s_delay_alu instid0(VALU_DEP_4) | instskip(SKIP_1) | instid1(VALU_DEP_3)
	v_rcp_f32_e32 v22, v45
	v_pk_fma_f32 v[2:3], v[2:3], v[10:11], v[18:19] op_sel:[0,0,1] op_sel_hi:[1,1,0] neg_lo:[0,0,1] neg_hi:[0,0,1]
	v_dual_fma_f32 v42, -v42, v46, v48 :: v_dual_mov_b32 v3, v23
	v_div_scale_f32 v26, vcc_lo, v9, v37, v9
	ds_bpermute_b32 v15, v33, v6
	v_fma_f32 v10, -v45, v22, 1.0
	v_mul_f32_e32 v24, v4, v24
	ds_bpermute_b32 v4, v33, v28
	v_pk_mul_f32 v[2:3], v[12:13], v[2:3]
	v_fmac_f32_e32 v22, v10, v22
	v_div_scale_f32 v27, null, v25, v25, v24
	s_delay_alu instid0(VALU_DEP_3) | instskip(NEXT) | instid1(VALU_DEP_4)
	v_div_scale_f32 v48, null, v37, v37, v3
	v_div_scale_f32 v50, null, v21, v21, v2
	s_delay_alu instid0(VALU_DEP_3) | instskip(NEXT) | instid1(VALU_DEP_2)
	v_rcp_f32_e32 v51, v27
	v_rcp_f32_e32 v52, v48
	v_div_scale_f32 v47, s2, v24, v25, v24
	s_delay_alu instid0(VALU_DEP_2) | instskip(SKIP_2) | instid1(TRANS32_DEP_2)
	v_rcp_f32_e32 v54, v50
	v_div_scale_f32 v49, s4, v3, v37, v3
	v_div_scale_f32 v53, s5, v2, v21, v2
	v_fma_f32 v19, -v48, v52, 1.0
	s_wait_dscnt 0x0
	v_pk_add_f32 v[10:11], v[28:29], v[4:5]
	v_mul_f32_e32 v23, v26, v22
	v_pk_add_f32 v[12:13], v[4:5], v[28:29] neg_lo:[0,1] neg_hi:[0,1]
	v_fma_f32 v4, -v27, v51, 1.0
	v_fma_f32 v29, -v50, v54, 1.0
	s_delay_alu instid0(VALU_DEP_4) | instskip(NEXT) | instid1(VALU_DEP_3)
	v_dual_mov_b32 v13, v11 :: v_dual_fma_f32 v18, -v45, v23, v26
	v_dual_fmac_f32 v52, v19, v52 :: v_dual_fmac_f32 v51, v4, v51
	s_delay_alu instid0(VALU_DEP_3) | instskip(NEXT) | instid1(VALU_DEP_3)
	v_fmac_f32_e32 v54, v29, v54
	v_fmac_f32_e32 v23, v18, v22
	s_delay_alu instid0(VALU_DEP_4) | instskip(SKIP_2) | instid1(VALU_DEP_4)
	v_pk_mul_f32 v[18:19], v[12:13], v[12:13]
	v_mov_b32_e32 v13, v21
	v_mul_f32_e32 v29, v49, v52
	v_fma_f32 v4, -v45, v23, v26
	v_dual_mul_f32 v26, v47, v51 :: v_dual_mul_f32 v45, v53, v54
	s_delay_alu instid0(VALU_DEP_2) | instskip(NEXT) | instid1(VALU_DEP_2)
	v_div_fmas_f32 v4, v4, v22, v23
	v_dual_fma_f32 v22, -v27, v26, v47 :: v_dual_fma_f32 v23, -v48, v29, v49
	s_mov_b32 vcc_lo, s3
	v_div_fmas_f32 v42, v42, v43, v46
	s_delay_alu instid0(VALU_DEP_2) | instskip(SKIP_2) | instid1(VALU_DEP_3)
	v_dual_fmac_f32 v26, v22, v51 :: v_dual_fmac_f32 v29, v23, v52
	v_dual_fma_f32 v43, -v50, v45, v53 :: v_dual_mul_f32 v46, v12, v18
	v_div_fixup_f32 v4, v4, v37, v9
	v_fma_f32 v9, -v27, v26, v47
	s_mov_b32 vcc_lo, s2
	s_delay_alu instid0(VALU_DEP_3)
	v_fmac_f32_e32 v45, v43, v54
	v_pk_mul_f32 v[22:23], v[12:13], v[14:15]
	v_div_fixup_f32 v8, v42, v21, v8
	v_dual_add_f32 v4, v17, v4 :: v_dual_fma_f32 v13, -v48, v29, v49
	v_div_fmas_f32 v9, v9, v51, v26
	s_mov_b32 vcc_lo, s4
	v_dual_fma_f32 v14, -v50, v45, v53 :: v_dual_mov_b32 v17, v5
	v_mul_f32_e32 v26, v12, v5
	s_delay_alu instid0(VALU_DEP_3)
	v_div_fixup_f32 v9, v9, v25, v24
	v_add_f32_e32 v4, v8, v4
	v_div_fmas_f32 v8, v13, v52, v29
	s_mov_b32 vcc_lo, s5
	v_div_fmas_f32 v13, v14, v54, v45
	v_mul_f32_e32 v14, v21, v46
	s_delay_alu instid0(VALU_DEP_3)
	v_div_fixup_f32 v3, v8, v37, v3
	v_add_f32_e32 v8, v35, v9
	ds_bpermute_b32 v25, v33, v4
	v_fma_f32 v23, -v6, v5, v23
	v_div_fixup_f32 v13, v13, v21, v2
	v_dual_mul_f32 v2, v12, v46 :: v_dual_mul_f32 v14, v14, v5
	v_add_f32_e32 v3, v3, v8
	v_div_scale_f32 v35, null, v11, v11, v26
	v_pk_mul_f32 v[8:9], v[30:31], v[18:19]
	s_delay_alu instid0(VALU_DEP_3) | instskip(SKIP_1) | instid1(VALU_DEP_4)
	v_dual_mul_f32 v14, v44, v14 :: v_dual_add_f32 v29, v13, v3
	v_mov_b32_e32 v13, v4
	v_rcp_f32_e32 v42, v35
	v_pk_mul_f32 v[2:3], v[20:21], v[2:3] op_sel_hi:[1,0]
	v_dual_mul_f32 v27, v22, v23 :: v_dual_mov_b32 v20, v5
	ds_bpermute_b32 v30, v33, v29
	v_dual_mov_b32 v22, v37 :: v_dual_mov_b32 v23, v5
	s_wait_dscnt 0x1
	v_dual_mov_b32 v19, v3 :: v_dual_add_f32 v33, v4, v25
	v_pk_mul_f32 v[12:13], v[12:13], v[16:17]
	ds_bpermute_b32 v16, v31, v11
	v_mov_b32_e32 v4, 0x40c00000
	v_mov_b32_e32 v24, v15
	v_fma_f32 v17, -v35, v42, 1.0
	v_fma_f32 v13, v21, v25, -v13
	v_pk_mul_f32 v[2:3], v[20:21], v[34:35] op_sel_hi:[1,0]
	v_pk_mul_f32 v[18:19], v[18:19], v[4:5]
	v_div_scale_f32 v43, null, v11, v11, v27
	s_delay_alu instid0(VALU_DEP_4) | instskip(SKIP_2) | instid1(VALU_DEP_4)
	v_dual_mov_b32 v25, v5 :: v_dual_mul_f32 v5, v12, v13
	v_dual_fmac_f32 v42, v17, v42 :: v_dual_mov_b32 v17, v11
	v_pk_mul_f32 v[2:3], v[6:7], v[2:3]
	v_rcp_f32_e32 v7, v43
	s_delay_alu instid0(VALU_DEP_3)
	v_div_scale_f32 v44, null, v11, v11, v5
	v_pk_fma_f32 v[12:13], v[20:21], v[34:35], v[36:37] op_sel_hi:[1,0,1] neg_lo:[1,0,0] neg_hi:[1,0,0]
	v_div_scale_f32 v45, vcc_lo, v26, v11, v26
	s_wait_dscnt 0x0
	v_pk_mul_f32 v[20:21], v[16:17], v[16:17]
	v_rcp_f32_e32 v12, v44
	v_fma_f32 v3, -v43, v7, 1.0
	v_mul_f32_e32 v34, v45, v42
	v_div_scale_f32 v37, s2, v27, v11, v27
	v_div_scale_f32 v36, null, v21, v21, v14
	s_delay_alu instid0(VALU_DEP_4) | instskip(NEXT) | instid1(TRANS32_DEP_1)
	v_fmac_f32_e32 v7, v3, v7
	v_fma_f32 v46, -v44, v12, 1.0
	v_dual_mov_b32 v3, v13 :: v_dual_fma_f32 v13, -v35, v34, v45
	s_delay_alu instid0(VALU_DEP_4) | instskip(NEXT) | instid1(VALU_DEP_2)
	v_rcp_f32_e32 v47, v36
	v_dual_mul_f32 v48, v37, v7 :: v_dual_fmac_f32 v12, v46, v12
	v_div_scale_f32 v46, s3, v5, v11, v5
	s_delay_alu instid0(VALU_DEP_3) | instskip(NEXT) | instid1(VALU_DEP_3)
	v_pk_fma_f32 v[2:3], v[22:23], v[24:25], v[2:3]
	v_dual_fmac_f32 v34, v13, v42 :: v_dual_fma_f32 v13, -v43, v48, v37
	s_delay_alu instid0(TRANS32_DEP_1) | instskip(NEXT) | instid1(VALU_DEP_4)
	v_fma_f32 v49, -v36, v47, 1.0
	v_mul_f32_e32 v22, v46, v12
	v_div_scale_f32 v23, s4, v14, v21, v14
	v_pk_mul_f32 v[2:3], v[18:19], v[2:3]
	s_delay_alu instid0(VALU_DEP_4) | instskip(NEXT) | instid1(VALU_DEP_4)
	v_dual_fmac_f32 v47, v49, v47 :: v_dual_fma_f32 v18, -v35, v34, v45
	v_dual_fmac_f32 v48, v13, v7 :: v_dual_fma_f32 v13, -v44, v22, v46
	v_pk_mul_f32 v[8:9], v[8:9], v[32:33]
	s_delay_alu instid0(VALU_DEP_3) | instskip(NEXT) | instid1(VALU_DEP_4)
	v_mul_f32_e32 v19, v23, v47
	v_div_fmas_f32 v18, v18, v42, v34
	s_delay_alu instid0(VALU_DEP_4)
	v_fma_f32 v24, -v43, v48, v37
	v_fmac_f32_e32 v22, v13, v12
	s_mov_b32 vcc_lo, s2
	v_fma_f32 v13, -v36, v19, v23
	v_add_f32_e32 v6, v6, v15
	v_div_fmas_f32 v7, v24, v7, v48
	s_mov_b32 vcc_lo, s3
	v_div_scale_f32 v34, s2, v2, v21, v2
	v_dual_fmac_f32 v19, v13, v47 :: v_dual_fma_f32 v24, -v44, v22, v46
	s_delay_alu instid0(VALU_DEP_3) | instskip(NEXT) | instid1(VALU_DEP_2)
	v_div_fixup_f32 v7, v7, v11, v27
	v_fma_f32 v9, -v36, v19, v23
	s_delay_alu instid0(VALU_DEP_3)
	v_div_fmas_f32 v22, v24, v12, v22
	v_pk_mul_f32 v[12:13], v[10:11], v[20:21]
	v_div_scale_f32 v12, null, v11, v11, v8
	v_div_scale_f32 v23, null, v21, v21, v2
	s_mov_b32 vcc_lo, s4
	v_rcp_f32_e32 v24, v12
	v_div_scale_f32 v25, null, v13, v13, v3
	v_rcp_f32_e32 v27, v23
	v_div_fmas_f32 v9, v9, v47, v19
	v_div_scale_f32 v36, s3, v3, v13, v3
	s_delay_alu instid0(VALU_DEP_3) | instskip(NEXT) | instid1(TRANS32_DEP_3)
	v_rcp_f32_e32 v32, v25
	v_fma_f32 v19, -v12, v24, 1.0
	s_delay_alu instid0(VALU_DEP_3) | instskip(SKIP_3) | instid1(VALU_DEP_4)
	v_div_fixup_f32 v14, v9, v21, v14
	v_mov_b32_e32 v9, v7
	v_fma_f32 v7, -v23, v27, 1.0
	v_div_fixup_f32 v5, v22, v11, v5
	v_add_f32_e32 v15, v33, v14
	v_div_scale_f32 v33, vcc_lo, v8, v11, v8
	v_fma_f32 v14, -v25, v32, 1.0
	v_fmac_f32_e32 v27, v7, v27
	v_fmac_f32_e32 v24, v19, v24
	v_div_fixup_f32 v7, v18, v11, v26
	s_delay_alu instid0(VALU_DEP_2) | instskip(SKIP_1) | instid1(VALU_DEP_2)
	v_dual_mul_f32 v37, v34, v27 :: v_dual_mul_f32 v35, v33, v24
	v_dual_fmac_f32 v32, v14, v32 :: v_dual_mov_b32 v14, v11
	v_dual_fma_f32 v19, -v23, v37, v34 :: v_dual_fma_f32 v18, -v12, v35, v33
	s_delay_alu instid0(VALU_DEP_2) | instskip(NEXT) | instid1(VALU_DEP_3)
	v_mul_f32_e32 v26, v36, v32
	v_pk_add_f32 v[14:15], v[8:9], v[14:15]
	v_add_f32_e32 v9, v28, v7
	s_delay_alu instid0(VALU_DEP_4) | instskip(NEXT) | instid1(VALU_DEP_4)
	v_dual_fmac_f32 v37, v19, v27 :: v_dual_fmac_f32 v35, v18, v24
	v_fma_f32 v14, -v25, v26, v36
	ds_bpermute_b32 v7, v31, v15
	ds_bpermute_b32 v19, v31, v9
	v_dual_fma_f32 v12, -v12, v35, v33 :: v_dual_fmac_f32 v26, v14, v32
	v_fma_f32 v14, -v23, v37, v34
	s_delay_alu instid0(VALU_DEP_2) | instskip(NEXT) | instid1(VALU_DEP_3)
	v_div_fmas_f32 v12, v12, v24, v35
	v_fma_f32 v18, -v25, v26, v36
	s_mov_b32 vcc_lo, s2
	v_add_f32_e32 v24, v29, v30
	v_div_fmas_f32 v23, v14, v27, v37
	s_mov_b32 vcc_lo, s3
	v_div_fixup_f32 v14, v12, v11, v8
	v_div_fmas_f32 v18, v18, v32, v26
	v_cmp_lt_f32_e32 vcc_lo, v38, v41
	v_mul_f32_e32 v8, v15, v16
	v_dual_mul_f32 v29, v11, v16 :: v_dual_mov_b32 v30, v21
	s_delay_alu instid0(VALU_DEP_4)
	v_div_fixup_f32 v3, v18, v13, v3
	s_wait_dscnt 0x1
	v_mul_f32_e32 v18, v11, v7
	v_pk_add_f32 v[12:13], v[14:15], v[6:7]
	v_cndmask_b32_e32 v36, v38, v41, vcc_lo
	v_div_fixup_f32 v7, v23, v21, v2
	v_cmp_lt_f32_e32 vcc_lo, v40, v39
	v_add_f32_e32 v14, v24, v3
	s_wait_dscnt 0x0
	v_pk_add_f32 v[2:3], v[18:19], v[8:9] neg_lo:[0,1] neg_hi:[0,1]
	v_dual_mov_b32 v15, v16 :: v_dual_mov_b32 v8, v11
	v_cndmask_b32_e32 v37, v39, v40, vcc_lo
	s_delay_alu instid0(VALU_DEP_3) | instskip(SKIP_2) | instid1(VALU_DEP_3)
	v_dual_add_f32 v7, v7, v14 :: v_dual_mul_f32 v14, 4.0, v3
	v_dual_mov_b32 v18, v3 :: v_dual_mov_b32 v19, v12
	v_dual_mov_b32 v22, v3 :: v_dual_mov_b32 v23, v16
	v_add_f32_e32 v40, v5, v7
	s_delay_alu instid0(VALU_DEP_4)
	v_pk_mul_f32 v[14:15], v[2:3], v[14:15]
	v_add_f32_e32 v2, v11, v16
	ds_bpermute_b32 v6, v31, v12
	v_pk_mul_f32 v[26:27], v[18:19], v[22:23]
	ds_bpermute_b32 v38, v31, v37
	ds_bpermute_b32 v39, v31, v36
	v_div_scale_f32 v5, null, v2, v2, v15
	v_div_scale_f32 v44, null, v2, v2, v14
	ds_bpermute_b32 v41, v31, v40
	v_rcp_f32_e32 v42, v5
	v_dual_mov_b32 v31, v16 :: v_dual_mov_b32 v28, v12
	v_dual_mul_f32 v43, v3, v26 :: v_dual_mov_b32 v7, v16
	v_rcp_f32_e32 v45, v44
	v_div_scale_f32 v46, vcc_lo, v15, v2, v15
	s_delay_alu instid0(TRANS32_DEP_2) | instskip(SKIP_3) | instid1(VALU_DEP_3)
	v_fma_f32 v32, -v5, v42, 1.0
	v_pk_fma_f32 v[28:29], v[16:17], v[16:17], v[28:29] neg_lo:[0,0,1] neg_hi:[0,0,1]
	s_wait_dscnt 0x3
	v_dual_mul_f32 v17, v11, v43 :: v_dual_mul_f32 v25, v11, v6
	v_dual_mov_b32 v24, v11 :: v_dual_fmac_f32 v42, v32, v42
	v_mov_b32_e32 v33, v2
	s_delay_alu instid0(VALU_DEP_3)
	v_pk_add_f32 v[34:35], v[10:11], v[16:17] op_sel:[1,0] neg_lo:[0,1] neg_hi:[0,1]
	v_dual_mul_f32 v32, v17, v16 :: v_dual_mov_b32 v35, v2
	v_fma_f32 v17, -v44, v45, 1.0
	v_mul_f32_e32 v47, v46, v42
	v_pk_mul_f32 v[20:21], v[20:21], v[12:13]
	v_mov_b32_e32 v21, v29
	v_pk_mul_f32 v[28:29], v[34:35], v[32:33]
	v_fmac_f32_e32 v45, v17, v45
	v_div_scale_f32 v33, s2, v14, v2, v14
	v_pk_fma_f32 v[18:19], v[18:19], v[22:23], v[24:25] neg_lo:[1,0,0] neg_hi:[1,0,0]
	v_fma_f32 v32, -v5, v47, v46
	v_pk_mul_f32 v[22:23], v[8:9], v[26:27]
	v_div_scale_f32 v34, null, v29, v29, v28
	v_pk_fma_f32 v[20:21], v[30:31], v[6:7], v[20:21]
	v_dual_mul_f32 v7, v33, v45 :: v_dual_mov_b32 v23, v19
	v_fmac_f32_e32 v47, v32, v42
	s_delay_alu instid0(VALU_DEP_4) | instskip(SKIP_3) | instid1(VALU_DEP_1)
	v_rcp_f32_e32 v24, v34
	v_mul_f32_e32 v17, 0x40400000, v3
	v_mul_f32_e32 v8, v3, v43
	v_fma_f32 v3, -v44, v7, v33
	v_fmac_f32_e32 v7, v3, v45
	s_delay_alu instid0(VALU_DEP_3) | instskip(NEXT) | instid1(VALU_DEP_1)
	v_pk_mul_f32 v[10:11], v[10:11], v[8:9] op_sel_hi:[1,0]
	v_mov_b32_e32 v27, v11
	v_pk_mul_f32 v[18:19], v[2:3], v[28:29] op_sel_hi:[0,1]
	v_fma_f32 v3, -v34, v24, 1.0
	v_dual_fma_f32 v18, -v5, v47, v46 :: v_dual_mov_b32 v5, v16
	s_delay_alu instid0(VALU_DEP_2) | instskip(SKIP_1) | instid1(VALU_DEP_3)
	v_fmac_f32_e32 v24, v3, v24
	v_pk_mul_f32 v[22:23], v[22:23], v[16:17]
	v_pk_mul_f32 v[4:5], v[26:27], v[4:5]
	s_delay_alu instid0(VALU_DEP_4) | instskip(SKIP_1) | instid1(VALU_DEP_4)
	v_div_fmas_f32 v10, v18, v42, v47
	v_div_scale_f32 v3, s3, v28, v29, v28
	v_div_scale_f32 v8, null, v2, v2, v23
	v_div_scale_f32 v18, null, v2, v2, v22
	v_pk_mul_f32 v[4:5], v[4:5], v[20:21]
	s_delay_alu instid0(VALU_DEP_3) | instskip(SKIP_1) | instid1(VALU_DEP_3)
	v_rcp_f32_e32 v11, v8
	v_fma_f32 v16, -v44, v7, v33
	v_rcp_f32_e32 v21, v18
	s_mov_b32 vcc_lo, s2
	v_div_scale_f32 v20, null, v29, v29, v4
	v_div_scale_f32 v26, null, v19, v19, v5
	s_delay_alu instid0(TRANS32_DEP_2) | instskip(NEXT) | instid1(TRANS32_DEP_1)
	v_fma_f32 v17, -v8, v11, 1.0
	v_fma_f32 v27, -v18, v21, 1.0
	v_div_fmas_f32 v16, v16, v45, v7
	s_delay_alu instid0(VALU_DEP_4) | instskip(NEXT) | instid1(VALU_DEP_3)
	v_rcp_f32_e32 v33, v26
	v_dual_mul_f32 v7, v3, v24 :: v_dual_fmac_f32 v11, v17, v11
	s_delay_alu instid0(VALU_DEP_3) | instskip(SKIP_3) | instid1(TRANS32_DEP_2)
	v_fmac_f32_e32 v21, v27, v21
	v_rcp_f32_e32 v17, v20
	v_div_scale_f32 v25, s2, v23, v2, v23
	v_div_scale_f32 v27, s4, v22, v2, v22
	v_fma_f32 v35, -v26, v33, 1.0
	s_mov_b32 vcc_lo, s3
	s_delay_alu instid0(TRANS32_DEP_1) | instskip(NEXT) | instid1(VALU_DEP_3)
	v_fma_f32 v32, -v20, v17, 1.0
	v_dual_fma_f32 v30, -v34, v7, v3 :: v_dual_mul_f32 v42, v27, v21
	s_delay_alu instid0(VALU_DEP_2) | instskip(NEXT) | instid1(VALU_DEP_2)
	v_dual_fmac_f32 v17, v32, v17 :: v_dual_mul_f32 v31, v25, v11
	v_fmac_f32_e32 v7, v30, v24
	v_div_scale_f32 v32, s5, v4, v29, v4
	s_delay_alu instid0(VALU_DEP_3) | instskip(SKIP_1) | instid1(VALU_DEP_3)
	v_fma_f32 v30, -v8, v31, v25
	v_fmac_f32_e32 v33, v35, v33
	v_dual_mul_f32 v43, v32, v17 :: v_dual_fma_f32 v3, -v34, v7, v3
	v_div_scale_f32 v35, s6, v5, v19, v5
	s_delay_alu instid0(VALU_DEP_4) | instskip(NEXT) | instid1(VALU_DEP_3)
	v_fmac_f32_e32 v31, v30, v11
	v_dual_fma_f32 v30, -v18, v42, v27 :: v_dual_fma_f32 v34, -v20, v43, v32
	s_delay_alu instid0(VALU_DEP_3) | instskip(SKIP_1) | instid1(VALU_DEP_4)
	v_mul_f32_e32 v44, v35, v33
	v_div_fmas_f32 v3, v3, v24, v7
	v_fma_f32 v7, -v8, v31, v25
	s_mov_b32 vcc_lo, s2
	v_fmac_f32_e32 v43, v34, v17
	v_fmac_f32_e32 v42, v30, v21
	v_fma_f32 v8, -v26, v44, v35
	v_div_fmas_f32 v11, v7, v11, v31
	s_mov_b32 vcc_lo, s4
	s_delay_alu instid0(VALU_DEP_2) | instskip(SKIP_1) | instid1(VALU_DEP_3)
	v_fmac_f32_e32 v44, v8, v33
	v_dual_fma_f32 v8, -v20, v43, v32 :: v_dual_fma_f32 v7, -v18, v42, v27
	v_div_fixup_f32 v11, v11, v2, v23
	s_delay_alu instid0(VALU_DEP_2) | instskip(NEXT) | instid1(VALU_DEP_4)
	v_div_fmas_f32 v18, v7, v21, v42
	v_fma_f32 v7, -v26, v44, v35
	s_mov_b32 vcc_lo, s5
	v_div_fmas_f32 v8, v8, v17, v43
	s_mov_b32 vcc_lo, s6
	s_wait_dscnt 0x0
	v_add_f32_e32 v17, v40, v41
	v_div_fmas_f32 v7, v7, v33, v44
	v_cmp_lt_f32_e32 vcc_lo, v36, v39
	s_delay_alu instid0(VALU_DEP_2)
	v_div_fixup_f32 v19, v7, v19, v5
	v_div_fixup_f32 v7, v3, v29, v28
	;; [unrolled: 1-line block ×5, first 2 shown]
	v_add_f32_e32 v8, v17, v19
	v_pk_add_f32 v[6:7], v[12:13], v[6:7]
	v_div_fixup_f32 v10, v18, v2, v22
	v_cndmask_b32_e32 v15, v36, v39, vcc_lo
	v_cmp_lt_f32_e32 vcc_lo, v38, v37
	v_add_f32_e32 v8, v3, v8
	s_delay_alu instid0(VALU_DEP_4) | instskip(SKIP_1) | instid1(VALU_DEP_3)
	v_pk_add_f32 v[10:11], v[10:11], v[6:7]
	v_cndmask_b32_e32 v14, v37, v38, vcc_lo
	v_pk_add_f32 v[4:5], v[4:5], v[8:9]
.LBB9_96:
	s_or_b32 exec_lo, exec_lo, s7
	s_branch .LBB9_124
.LBB9_97:
                                        ; implicit-def: $vgpr9
                                        ; implicit-def: $vgpr13
                                        ; implicit-def: $vgpr16_vgpr17
                                        ; implicit-def: $sgpr10_sgpr11
.LBB9_98:
	s_and_saveexec_b32 s2, s23
	s_cbranch_execnz .LBB9_129
.LBB9_99:
	s_endpgm
.LBB9_100:
                                        ; implicit-def: $vgpr14_vgpr15
                                        ; implicit-def: $vgpr4_vgpr5
                                        ; implicit-def: $vgpr10_vgpr11
	s_cbranch_execz .LBB9_124
; %bb.101:
	s_sub_co_i32 s2, s18, s24
	s_mov_b32 s3, exec_lo
                                        ; implicit-def: $vgpr2
                                        ; implicit-def: $vgpr10_vgpr11
                                        ; implicit-def: $vgpr14_vgpr15
	v_cmpx_gt_u32_e64 s2, v0
	s_cbranch_execz .LBB9_103
; %bb.102:
	s_mul_u64 s[4:5], s[24:25], 28
	s_delay_alu instid0(SALU_CYCLE_1)
	s_add_nc_u64 s[4:5], s[16:17], s[4:5]
	s_wait_dscnt 0x0
	v_mad_nc_u64_u32 v[6:7], v0, 28, s[4:5]
	s_clause 0x1
	global_load_b128 v[2:5], v[6:7], off
	global_load_b96 v[10:12], v[6:7], off offset:16
	s_wait_loadcnt 0x1
	v_dual_mov_b32 v14, v3 :: v_dual_mov_b32 v15, v4
	s_wait_loadcnt 0x0
	v_mov_b32_e32 v4, v12
.LBB9_103:
	s_or_b32 exec_lo, exec_lo, s3
	v_cmp_ne_u32_e32 vcc_lo, 31, v1
	s_wait_dscnt 0x4
	v_and_b32_e32 v12, 0xe0, v0
	s_min_u32 s6, s2, 0x100
	s_mov_b32 s7, exec_lo
	v_add_nc_u32_e32 v17, 1, v1
	s_wait_dscnt 0x0
	v_add_co_ci_u32_e64 v3, null, 0, v1, vcc_lo
	v_sub_nc_u32_e64 v12, s6, v12 clamp
	s_delay_alu instid0(VALU_DEP_2)
	v_lshlrev_b32_e32 v8, 2, v3
	ds_bpermute_b32 v7, v8, v2
	ds_bpermute_b32 v13, v8, v14
	;; [unrolled: 1-line block ×7, first 2 shown]
	v_cmpx_lt_u32_e64 v17, v12
	s_cbranch_execz .LBB9_105
; %bb.104:
	s_wait_dscnt 0x2
	v_pk_mul_f32 v[18:19], v[10:11], v[6:7]
	s_wait_dscnt 0x0
	v_dual_add_f32 v36, v4, v8 :: v_dual_mul_f32 v8, v2, v3
	v_dual_add_f32 v21, v11, v3 :: v_dual_mov_b32 v23, v2
	s_delay_alu instid0(VALU_DEP_3) | instskip(SKIP_2) | instid1(VALU_DEP_3)
	v_dual_mov_b32 v4, v19 :: v_dual_add_f32 v19, v2, v7
	v_dual_mov_b32 v3, v7 :: v_dual_mov_b32 v25, v6
	v_sub_f32_e32 v18, v2, v7
	v_pk_add_f32 v[8:9], v[8:9], v[4:5] neg_lo:[0,1] neg_hi:[0,1]
	v_mul_f32_e32 v4, v7, v7
	s_delay_alu instid0(VALU_DEP_4) | instskip(SKIP_1) | instid1(VALU_DEP_4)
	v_pk_mul_f32 v[26:27], v[2:3], v[2:3] op_sel_hi:[0,1]
	v_dual_mov_b32 v17, v10 :: v_dual_mov_b32 v27, v7
	v_dual_mov_b32 v22, v9 :: v_dual_mov_b32 v24, v9
	s_delay_alu instid0(VALU_DEP_4) | instskip(NEXT) | instid1(VALU_DEP_2)
	v_pk_mul_f32 v[28:29], v[10:11], v[4:5] op_sel_hi:[1,0]
	v_pk_mul_f32 v[22:23], v[22:23], v[24:25]
	v_dual_mov_b32 v25, v26 :: v_dual_mov_b32 v24, v7
	s_delay_alu instid0(VALU_DEP_2) | instskip(SKIP_1) | instid1(VALU_DEP_3)
	v_pk_fma_f32 v[30:31], v[16:17], v[6:7], v[22:23] neg_lo:[1,0,0] neg_hi:[1,0,0]
	v_pk_mul_f32 v[34:35], v[22:23], v[2:3]
	v_pk_fma_f32 v[32:33], v[2:3], v[2:3], v[24:25] op_sel_hi:[0,1,1] neg_lo:[1,0,0] neg_hi:[1,0,0]
	v_dual_mul_f32 v25, 0x40400000, v9 :: v_dual_mul_f32 v4, v9, v22
	s_delay_alu instid0(VALU_DEP_4) | instskip(NEXT) | instid1(VALU_DEP_3)
	v_dual_mov_b32 v35, v31 :: v_dual_mov_b32 v30, v6
	v_dual_mov_b32 v29, v33 :: v_dual_mov_b32 v33, v19
	s_delay_alu instid0(VALU_DEP_3) | instskip(NEXT) | instid1(VALU_DEP_3)
	v_dual_mul_f32 v3, v2, v4 :: v_dual_mul_f32 v4, v9, v4
	v_pk_mul_f32 v[24:25], v[34:35], v[24:25]
	s_delay_alu instid0(VALU_DEP_3) | instskip(NEXT) | instid1(VALU_DEP_3)
	v_pk_fma_f32 v[26:27], v[26:27], v[6:7], v[28:29]
	v_dual_mul_f32 v32, v3, v7 :: v_dual_mul_f32 v23, v2, v4
	s_delay_alu instid0(VALU_DEP_3) | instskip(NEXT) | instid1(VALU_DEP_4)
	v_div_scale_f32 v11, null, v19, v19, v25
	v_div_scale_f32 v17, null, v19, v19, v24
	v_div_scale_f32 v20, vcc_lo, v25, v19, v25
	s_delay_alu instid0(VALU_DEP_3) | instskip(SKIP_4) | instid1(VALU_DEP_3)
	v_rcp_f32_e32 v4, v11
	v_mov_b32_e32 v6, 0x40c00000
	v_pk_mul_f32 v[2:3], v[18:19], v[32:33]
	v_rcp_f32_e32 v18, v17
	v_div_scale_f32 v31, s2, v24, v19, v24
	v_pk_mul_f32 v[22:23], v[22:23], v[6:7]
	s_delay_alu instid0(TRANS32_DEP_2) | instskip(SKIP_1) | instid1(TRANS32_DEP_1)
	v_fma_f32 v6, -v11, v4, 1.0
	v_div_scale_f32 v28, null, v3, v3, v2
	v_fma_f32 v29, -v17, v18, 1.0
	s_delay_alu instid0(VALU_DEP_4) | instskip(NEXT) | instid1(VALU_DEP_4)
	v_pk_mul_f32 v[22:23], v[22:23], v[26:27]
	v_fmac_f32_e32 v4, v6, v4
	s_delay_alu instid0(VALU_DEP_4) | instskip(SKIP_1) | instid1(VALU_DEP_2)
	v_rcp_f32_e32 v26, v28
	v_div_scale_f32 v39, s3, v2, v3, v2
	v_dual_fmac_f32 v18, v29, v18 :: v_dual_mul_f32 v29, v20, v4
	v_mul_f32_e32 v6, 4.0, v9
	v_div_scale_f32 v27, null, v3, v3, v22
	s_delay_alu instid0(VALU_DEP_3)
	v_mul_f32_e32 v32, v31, v18
	v_mul_f32_e32 v33, v19, v3
	v_fma_f32 v35, -v28, v26, 1.0
	v_fma_f32 v37, -v11, v29, v20
	v_rcp_f32_e32 v34, v27
	v_fma_f32 v38, -v17, v32, v31
	v_pk_mul_f32 v[6:7], v[8:9], v[6:7]
	s_delay_alu instid0(VALU_DEP_3) | instskip(SKIP_1) | instid1(TRANS32_DEP_1)
	v_dual_fmac_f32 v26, v35, v26 :: v_dual_fmac_f32 v29, v37, v4
	v_div_scale_f32 v37, null, v33, v33, v23
	v_fma_f32 v35, -v27, v34, 1.0
	v_div_scale_f32 v8, s4, v22, v3, v22
	s_delay_alu instid0(VALU_DEP_4) | instskip(NEXT) | instid1(VALU_DEP_4)
	v_fma_f32 v11, -v11, v29, v20
	v_rcp_f32_e32 v20, v37
	s_delay_alu instid0(VALU_DEP_1) | instskip(SKIP_2) | instid1(TRANS32_DEP_1)
	v_div_fmas_f32 v4, v11, v4, v29
	s_mov_b32 vcc_lo, s2
	v_div_scale_f32 v11, null, v19, v19, v7
	v_fma_f32 v9, -v37, v20, 1.0
	v_fmac_f32_e32 v34, v35, v34
	v_div_scale_f32 v35, null, v19, v19, v6
	s_delay_alu instid0(VALU_DEP_3) | instskip(SKIP_4) | instid1(VALU_DEP_2)
	v_fmac_f32_e32 v20, v9, v20
	v_div_scale_f32 v9, s2, v23, v33, v23
	v_fmac_f32_e32 v32, v38, v18
	v_mul_f32_e32 v38, v39, v26
	v_rcp_f32_e32 v41, v35
	v_fma_f32 v17, -v17, v32, v31
	v_dual_mul_f32 v31, v9, v20 :: v_dual_mul_f32 v29, v8, v34
	s_delay_alu instid0(VALU_DEP_2) | instskip(SKIP_3) | instid1(VALU_DEP_1)
	v_div_fmas_f32 v17, v17, v18, v32
	v_rcp_f32_e32 v32, v11
	v_fma_f32 v18, -v28, v38, v39
	s_mov_b32 vcc_lo, s3
	v_dual_fmac_f32 v38, v18, v26 :: v_dual_fma_f32 v18, -v27, v29, v8
	s_delay_alu instid0(TRANS32_DEP_1) | instskip(NEXT) | instid1(VALU_DEP_2)
	v_fma_f32 v40, -v11, v32, 1.0
	v_fma_f32 v28, -v28, v38, v39
	s_delay_alu instid0(VALU_DEP_2) | instskip(SKIP_3) | instid1(VALU_DEP_3)
	v_dual_fmac_f32 v29, v18, v34 :: v_dual_fmac_f32 v32, v40, v32
	v_fma_f32 v18, -v37, v31, v9
	v_div_scale_f32 v39, s5, v7, v19, v7
	v_fma_f32 v40, -v35, v41, 1.0
	v_dual_fma_f32 v8, -v27, v29, v8 :: v_dual_fmac_f32 v31, v18, v20
	s_delay_alu instid0(VALU_DEP_3) | instskip(SKIP_1) | instid1(VALU_DEP_4)
	v_mul_f32_e32 v18, v39, v32
	v_div_scale_f32 v27, s3, v6, v19, v6
	v_fmac_f32_e32 v41, v40, v41
	v_div_fmas_f32 v26, v28, v26, v38
	v_fma_f32 v9, -v37, v31, v9
	s_mov_b32 vcc_lo, s4
	s_delay_alu instid0(VALU_DEP_3) | instskip(SKIP_3) | instid1(VALU_DEP_3)
	v_mul_f32_e32 v28, v27, v41
	v_div_fmas_f32 v8, v8, v34, v29
	v_fma_f32 v29, -v11, v18, v39
	s_mov_b32 vcc_lo, s2
	v_fma_f32 v34, -v35, v28, v27
	v_div_fmas_f32 v31, v9, v20, v31
	s_delay_alu instid0(VALU_DEP_3) | instskip(SKIP_1) | instid1(VALU_DEP_4)
	v_dual_mov_b32 v20, v10 :: v_dual_fmac_f32 v18, v29, v32
	v_div_fixup_f32 v9, v4, v19, v25
	v_fmac_f32_e32 v28, v34, v41
	s_delay_alu instid0(VALU_DEP_4)
	v_div_fixup_f32 v4, v31, v33, v23
	v_div_fixup_f32 v31, v26, v3, v2
	v_fma_f32 v2, -v11, v18, v39
	v_div_fixup_f32 v10, v8, v3, v22
	v_fma_f32 v3, -v35, v28, v27
	s_mov_b32 vcc_lo, s5
	v_add_f32_e32 v4, v36, v4
	v_div_fmas_f32 v11, v2, v32, v18
	s_mov_b32 vcc_lo, s3
	v_div_fixup_f32 v8, v17, v19, v24
	v_div_fmas_f32 v18, v3, v41, v28
	v_cmp_lt_f32_e32 vcc_lo, v15, v16
	v_pk_add_f32 v[2:3], v[20:21], v[30:31]
	v_add_f32_e32 v4, v10, v4
	v_div_fixup_f32 v7, v11, v19, v7
	v_div_fixup_f32 v6, v18, v19, v6
	v_cndmask_b32_e32 v15, v15, v16, vcc_lo
	v_cmp_lt_f32_e32 vcc_lo, v13, v14
	v_pk_add_f32 v[10:11], v[8:9], v[2:3]
	v_mov_b32_e32 v2, v19
	v_pk_add_f32 v[4:5], v[4:5], v[6:7]
	v_cndmask_b32_e32 v14, v14, v13, vcc_lo
.LBB9_105:
	s_or_b32 exec_lo, exec_lo, s7
	v_cmp_gt_u32_e32 vcc_lo, 30, v1
	s_mov_b32 s7, exec_lo
	s_wait_dscnt 0x1
	v_cndmask_b32_e64 v3, 0, 2, vcc_lo
	s_delay_alu instid0(VALU_DEP_1)
	v_add_lshl_u32 v3, v3, v1, 2
	ds_bpermute_b32 v7, v3, v2
	ds_bpermute_b32 v13, v3, v14
	;; [unrolled: 1-line block ×6, first 2 shown]
	s_wait_dscnt 0x6
	ds_bpermute_b32 v8, v3, v4
	v_add_nc_u32_e32 v3, 2, v1
	s_delay_alu instid0(VALU_DEP_1)
	v_cmpx_lt_u32_e64 v3, v12
	s_cbranch_execz .LBB9_107
; %bb.106:
	s_wait_dscnt 0x2
	v_pk_mul_f32 v[20:21], v[10:11], v[6:7]
	s_wait_dscnt 0x0
	v_dual_mov_b32 v3, v10 :: v_dual_add_f32 v34, v4, v8
	v_dual_mul_f32 v18, v2, v6 :: v_dual_mul_f32 v8, v2, v17
	s_delay_alu instid0(VALU_DEP_3) | instskip(SKIP_1) | instid1(VALU_DEP_3)
	v_dual_mov_b32 v4, v21 :: v_dual_add_f32 v23, v2, v7
	v_add_f32_e32 v25, v11, v17
	v_pk_fma_f32 v[18:19], v[2:3], v[6:7], v[18:19] op_sel_hi:[1,1,0] neg_lo:[1,0,0] neg_hi:[1,0,0]
	v_mov_b32_e32 v3, v7
	s_delay_alu instid0(VALU_DEP_4) | instskip(SKIP_2) | instid1(VALU_DEP_4)
	v_pk_add_f32 v[8:9], v[8:9], v[4:5] neg_lo:[0,1] neg_hi:[0,1]
	v_dual_mov_b32 v24, v10 :: v_dual_mul_f32 v4, v7, v7
	v_mov_b32_e32 v18, v7
	v_pk_mul_f32 v[20:21], v[2:3], v[2:3] op_sel_hi:[0,1]
	s_delay_alu instid0(VALU_DEP_4) | instskip(SKIP_1) | instid1(VALU_DEP_3)
	v_pk_mul_f32 v[26:27], v[8:9], v[8:9]
	v_dual_sub_f32 v22, v2, v7 :: v_dual_mov_b32 v29, 0x40400000
	v_dual_mov_b32 v26, v6 :: v_dual_mov_b32 v17, v20
	s_delay_alu instid0(VALU_DEP_3) | instskip(SKIP_2) | instid1(VALU_DEP_4)
	v_dual_mul_f32 v35, v9, v27 :: v_dual_mov_b32 v28, v27
	v_pk_mul_f32 v[10:11], v[10:11], v[4:5] op_sel_hi:[1,0]
	v_mov_b32_e32 v33, v23
	v_pk_fma_f32 v[30:31], v[2:3], v[2:3], v[16:17] op_sel_hi:[0,1,1] neg_lo:[1,0,0] neg_hi:[1,0,0]
	s_delay_alu instid0(VALU_DEP_4) | instskip(SKIP_1) | instid1(VALU_DEP_3)
	v_dual_mov_b32 v3, v9 :: v_dual_mul_f32 v17, v2, v35
	v_dual_mov_b32 v30, v27 :: v_dual_mov_b32 v21, v7
	v_mov_b32_e32 v11, v31
	s_delay_alu instid0(VALU_DEP_3) | instskip(NEXT) | instid1(VALU_DEP_4)
	v_pk_mul_f32 v[28:29], v[2:3], v[28:29]
	v_mul_f32_e32 v32, v17, v7
	v_mul_f32_e32 v3, v9, v35
	s_delay_alu instid0(VALU_DEP_4) | instskip(NEXT) | instid1(VALU_DEP_4)
	v_pk_fma_f32 v[10:11], v[20:21], v[6:7], v[10:11]
	v_pk_mul_f32 v[18:19], v[28:29], v[18:19]
	s_delay_alu instid0(VALU_DEP_4) | instskip(NEXT) | instid1(VALU_DEP_4)
	v_pk_mul_f32 v[28:29], v[22:23], v[32:33]
	v_dual_mov_b32 v6, 0x40c00000 :: v_dual_mul_f32 v31, v2, v3
	s_delay_alu instid0(VALU_DEP_3) | instskip(NEXT) | instid1(VALU_DEP_3)
	v_div_scale_f32 v4, null, v23, v23, v19
	v_div_scale_f32 v17, null, v29, v29, v28
	s_delay_alu instid0(VALU_DEP_3) | instskip(NEXT) | instid1(VALU_DEP_3)
	v_pk_mul_f32 v[2:3], v[30:31], v[6:7]
	v_rcp_f32_e32 v20, v4
	v_div_scale_f32 v27, null, v23, v23, v18
	s_delay_alu instid0(VALU_DEP_3) | instskip(SKIP_2) | instid1(TRANS32_DEP_2)
	v_rcp_f32_e32 v21, v17
	v_div_scale_f32 v22, s2, v19, v23, v19
	v_div_scale_f32 v31, vcc_lo, v28, v29, v28
	v_fma_f32 v6, -v4, v20, 1.0
	v_pk_mul_f32 v[2:3], v[2:3], v[10:11]
	s_delay_alu instid0(TRANS32_DEP_1) | instskip(SKIP_1) | instid1(VALU_DEP_2)
	v_fma_f32 v30, -v17, v21, 1.0
	v_rcp_f32_e32 v10, v27
	v_div_scale_f32 v11, null, v29, v29, v2
	s_delay_alu instid0(VALU_DEP_2) | instskip(SKIP_1) | instid1(TRANS32_DEP_1)
	v_fmac_f32_e32 v21, v30, v21
	v_fmac_f32_e32 v20, v6, v20
	v_fma_f32 v36, -v27, v10, 1.0
	v_mul_f32_e32 v39, v23, v29
	v_div_scale_f32 v30, s3, v18, v23, v18
	s_delay_alu instid0(VALU_DEP_4) | instskip(NEXT) | instid1(VALU_DEP_4)
	v_dual_mul_f32 v33, v31, v21 :: v_dual_mul_f32 v32, v22, v20
	v_fmac_f32_e32 v10, v36, v10
	v_rcp_f32_e32 v35, v11
	v_mul_f32_e32 v6, 4.0, v9
	s_delay_alu instid0(VALU_DEP_3) | instskip(NEXT) | instid1(VALU_DEP_2)
	v_dual_fma_f32 v38, -v17, v33, v31 :: v_dual_fma_f32 v37, -v4, v32, v22
	v_pk_mul_f32 v[6:7], v[8:9], v[6:7]
	s_delay_alu instid0(VALU_DEP_2) | instskip(SKIP_3) | instid1(VALU_DEP_4)
	v_dual_fmac_f32 v33, v38, v21 :: v_dual_fmac_f32 v32, v37, v20
	v_div_scale_f32 v37, null, v39, v39, v3
	v_mul_f32_e32 v38, v30, v10
	v_fma_f32 v36, -v11, v35, 1.0
	v_fma_f32 v4, -v4, v32, v22
	s_delay_alu instid0(VALU_DEP_4) | instskip(SKIP_2) | instid1(VALU_DEP_2)
	v_rcp_f32_e32 v22, v37
	v_fma_f32 v17, -v17, v33, v31
	v_div_scale_f32 v9, s4, v2, v29, v2
	v_div_fmas_f32 v8, v17, v21, v33
	s_delay_alu instid0(TRANS32_DEP_1) | instskip(SKIP_3) | instid1(VALU_DEP_3)
	v_fma_f32 v17, -v37, v22, 1.0
	v_div_scale_f32 v21, null, v23, v23, v7
	v_fmac_f32_e32 v35, v36, v35
	s_mov_b32 vcc_lo, s2
	v_fmac_f32_e32 v22, v17, v22
	s_delay_alu instid0(VALU_DEP_3) | instskip(SKIP_4) | instid1(VALU_DEP_3)
	v_rcp_f32_e32 v17, v21
	v_div_fmas_f32 v4, v4, v20, v32
	v_dual_fma_f32 v20, -v27, v38, v30 :: v_dual_mul_f32 v31, v9, v35
	v_div_scale_f32 v32, s2, v3, v39, v3
	v_div_scale_f32 v33, null, v23, v23, v6
	v_dual_fmac_f32 v38, v20, v10 :: v_dual_fma_f32 v20, -v11, v31, v9
	s_delay_alu instid0(VALU_DEP_3) | instskip(SKIP_1) | instid1(VALU_DEP_4)
	v_mul_f32_e32 v36, v32, v22
	v_fma_f32 v40, -v21, v17, 1.0
	v_rcp_f32_e32 v41, v33
	s_delay_alu instid0(VALU_DEP_3) | instskip(NEXT) | instid1(VALU_DEP_2)
	v_dual_fma_f32 v27, -v27, v38, v30 :: v_dual_fmac_f32 v31, v20, v35
	v_dual_fma_f32 v20, -v37, v36, v32 :: v_dual_fmac_f32 v17, v40, v17
	v_div_scale_f32 v30, s5, v7, v23, v7
	s_delay_alu instid0(TRANS32_DEP_1) | instskip(NEXT) | instid1(VALU_DEP_3)
	v_fma_f32 v40, -v33, v41, 1.0
	v_dual_fma_f32 v9, -v11, v31, v9 :: v_dual_fmac_f32 v36, v20, v22
	s_delay_alu instid0(VALU_DEP_3)
	v_mul_f32_e32 v11, v30, v17
	s_mov_b32 vcc_lo, s3
	v_div_scale_f32 v20, s3, v6, v23, v6
	v_div_fmas_f32 v10, v27, v10, v38
	s_mov_b32 vcc_lo, s4
	v_div_fixup_f32 v27, v8, v29, v28
	v_div_fmas_f32 v31, v9, v35, v31
	v_dual_fma_f32 v9, -v37, v36, v32 :: v_dual_fmac_f32 v41, v40, v41
	v_fma_f32 v35, -v21, v11, v30
	s_mov_b32 vcc_lo, s2
	s_delay_alu instid0(VALU_DEP_2) | instskip(SKIP_1) | instid1(VALU_DEP_2)
	v_div_fmas_f32 v9, v9, v22, v36
	s_mov_b32 vcc_lo, s5
	v_fmac_f32_e32 v11, v35, v17
	v_mul_f32_e32 v32, v20, v41
	s_delay_alu instid0(VALU_DEP_3) | instskip(SKIP_1) | instid1(VALU_DEP_3)
	v_div_fixup_f32 v3, v9, v39, v3
	v_pk_add_f32 v[8:9], v[24:25], v[26:27]
	v_fma_f32 v22, -v33, v32, v20
	s_delay_alu instid0(VALU_DEP_1) | instskip(SKIP_2) | instid1(VALU_DEP_3)
	v_fmac_f32_e32 v32, v22, v41
	v_div_fixup_f32 v22, v31, v29, v2
	v_fma_f32 v2, -v21, v11, v30
	v_dual_add_f32 v21, v34, v3 :: v_dual_fma_f32 v3, -v33, v32, v20
	s_delay_alu instid0(VALU_DEP_2) | instskip(SKIP_2) | instid1(VALU_DEP_3)
	v_div_fmas_f32 v11, v2, v17, v11
	s_mov_b32 vcc_lo, s3
	v_div_fixup_f32 v2, v10, v23, v18
	v_div_fmas_f32 v17, v3, v41, v32
	v_cmp_lt_f32_e32 vcc_lo, v15, v16
	v_div_fixup_f32 v3, v4, v23, v19
	v_add_f32_e32 v4, v22, v21
	v_div_fixup_f32 v7, v11, v23, v7
	v_div_fixup_f32 v6, v17, v23, v6
	v_cndmask_b32_e32 v15, v15, v16, vcc_lo
	v_cmp_lt_f32_e32 vcc_lo, v13, v14
	v_pk_add_f32 v[10:11], v[2:3], v[8:9]
	v_mov_b32_e32 v2, v23
	v_pk_add_f32 v[4:5], v[4:5], v[6:7]
	v_cndmask_b32_e32 v14, v14, v13, vcc_lo
.LBB9_107:
	s_or_b32 exec_lo, exec_lo, s7
	v_cmp_gt_u32_e32 vcc_lo, 28, v1
	s_mov_b32 s7, exec_lo
	v_cndmask_b32_e64 v3, 0, 4, vcc_lo
	s_delay_alu instid0(VALU_DEP_1)
	v_add_lshl_u32 v3, v3, v1, 2
	s_wait_dscnt 0x6
	ds_bpermute_b32 v7, v3, v2
	s_wait_dscnt 0x6
	ds_bpermute_b32 v13, v3, v14
	;; [unrolled: 2-line block ×7, first 2 shown]
	v_add_nc_u32_e32 v3, 4, v1
	s_delay_alu instid0(VALU_DEP_1)
	v_cmpx_lt_u32_e64 v3, v12
	s_cbranch_execz .LBB9_109
; %bb.108:
	s_wait_dscnt 0x2
	v_pk_mul_f32 v[18:19], v[10:11], v[6:7]
	s_wait_dscnt 0x0
	v_dual_mov_b32 v3, v10 :: v_dual_add_f32 v34, v4, v8
	v_dual_mul_f32 v18, v2, v6 :: v_dual_mul_f32 v8, v2, v17
	s_delay_alu instid0(VALU_DEP_3) | instskip(SKIP_1) | instid1(VALU_DEP_3)
	v_dual_mov_b32 v4, v19 :: v_dual_mov_b32 v20, v2
	v_dual_mov_b32 v21, v7 :: v_dual_add_f32 v23, v2, v7
	v_pk_fma_f32 v[18:19], v[2:3], v[6:7], v[18:19] op_sel_hi:[1,1,0] neg_lo:[1,0,0] neg_hi:[1,0,0]
	v_mov_b32_e32 v3, 0x40400000
	s_delay_alu instid0(VALU_DEP_4) | instskip(SKIP_2) | instid1(VALU_DEP_4)
	v_pk_add_f32 v[8:9], v[8:9], v[4:5] neg_lo:[0,1] neg_hi:[0,1]
	v_mul_f32_e32 v4, v7, v7
	v_dual_mov_b32 v31, v23 :: v_dual_mov_b32 v18, v7
	v_pk_mul_f32 v[24:25], v[2:3], v[20:21] op_sel_hi:[0,1]
	s_delay_alu instid0(VALU_DEP_4) | instskip(SKIP_3) | instid1(VALU_DEP_4)
	v_pk_mul_f32 v[26:27], v[8:9], v[8:9]
	v_sub_f32_e32 v22, v2, v7
	v_mov_b32_e32 v26, v6
	v_pk_mul_f32 v[28:29], v[10:11], v[4:5] op_sel_hi:[1,0]
	v_dual_mov_b32 v25, v24 :: v_dual_mul_f32 v4, v9, v27
	v_dual_mov_b32 v33, v9 :: v_dual_mov_b32 v32, v27
	s_delay_alu instid0(VALU_DEP_2) | instskip(NEXT) | instid1(VALU_DEP_3)
	v_pk_fma_f32 v[20:21], v[2:3], v[20:21], v[24:25] op_sel_hi:[0,1,1] neg_lo:[1,0,0] neg_hi:[1,0,0]
	v_dual_mul_f32 v20, v2, v4 :: v_dual_mov_b32 v25, v7
	s_delay_alu instid0(VALU_DEP_3) | instskip(SKIP_1) | instid1(VALU_DEP_3)
	v_pk_mul_f32 v[32:33], v[2:3], v[32:33]
	v_mul_f32_e32 v3, v9, v4
	v_dual_mov_b32 v29, v21 :: v_dual_mul_f32 v30, v20, v7
	v_mov_b32_e32 v20, v27
	s_delay_alu instid0(VALU_DEP_4) | instskip(NEXT) | instid1(VALU_DEP_4)
	v_pk_mul_f32 v[18:19], v[32:33], v[18:19]
	v_mul_f32_e32 v21, v2, v3
	s_delay_alu instid0(VALU_DEP_4) | instskip(SKIP_4) | instid1(VALU_DEP_4)
	v_pk_fma_f32 v[24:25], v[24:25], v[6:7], v[28:29]
	v_pk_mul_f32 v[28:29], v[22:23], v[30:31]
	v_mov_b32_e32 v6, 0x40c00000
	v_div_scale_f32 v4, null, v23, v23, v19
	v_div_scale_f32 v27, null, v23, v23, v18
	;; [unrolled: 1-line block ×3, first 2 shown]
	s_delay_alu instid0(VALU_DEP_3) | instskip(SKIP_2) | instid1(VALU_DEP_3)
	v_rcp_f32_e32 v30, v4
	v_pk_mul_f32 v[20:21], v[20:21], v[6:7]
	v_div_scale_f32 v6, s2, v19, v23, v19
	v_rcp_f32_e32 v31, v22
	v_div_scale_f32 v35, s3, v18, v23, v18
	s_delay_alu instid0(TRANS32_DEP_2) | instskip(SKIP_3) | instid1(TRANS32_DEP_1)
	v_fma_f32 v2, -v4, v30, 1.0
	v_add_f32_e32 v3, v11, v17
	v_pk_mul_f32 v[20:21], v[20:21], v[24:25]
	v_div_scale_f32 v24, vcc_lo, v28, v29, v28
	v_fma_f32 v17, -v22, v31, 1.0
	v_fmac_f32_e32 v30, v2, v30
	v_rcp_f32_e32 v11, v27
	s_delay_alu instid0(VALU_DEP_2) | instskip(NEXT) | instid1(VALU_DEP_2)
	v_dual_mov_b32 v2, v10 :: v_dual_fmac_f32 v31, v17, v31
	v_mul_f32_e32 v25, v6, v30
	v_div_scale_f32 v17, null, v29, v29, v20
	s_delay_alu instid0(TRANS32_DEP_1) | instskip(NEXT) | instid1(VALU_DEP_4)
	v_fma_f32 v10, -v27, v11, 1.0
	v_mul_f32_e32 v32, v24, v31
	s_delay_alu instid0(VALU_DEP_4) | instskip(NEXT) | instid1(VALU_DEP_4)
	v_fma_f32 v36, -v4, v25, v6
	v_rcp_f32_e32 v33, v17
	s_delay_alu instid0(VALU_DEP_3) | instskip(NEXT) | instid1(VALU_DEP_2)
	v_dual_mul_f32 v38, v23, v29 :: v_dual_fmac_f32 v11, v10, v11
	v_dual_fma_f32 v37, -v22, v32, v24 :: v_dual_fmac_f32 v25, v36, v30
	s_delay_alu instid0(VALU_DEP_2) | instskip(NEXT) | instid1(VALU_DEP_2)
	v_div_scale_f32 v36, null, v38, v38, v21
	v_fmac_f32_e32 v32, v37, v31
	s_delay_alu instid0(TRANS32_DEP_1) | instskip(NEXT) | instid1(VALU_DEP_4)
	v_fma_f32 v10, -v17, v33, 1.0
	v_dual_mul_f32 v37, v35, v11 :: v_dual_fma_f32 v4, -v4, v25, v6
	s_delay_alu instid0(VALU_DEP_3) | instskip(NEXT) | instid1(VALU_DEP_3)
	v_dual_mul_f32 v6, 4.0, v9 :: v_dual_fma_f32 v22, -v22, v32, v24
	v_fmac_f32_e32 v33, v10, v33
	v_rcp_f32_e32 v10, v36
	s_delay_alu instid0(VALU_DEP_2) | instskip(SKIP_3) | instid1(TRANS32_DEP_1)
	v_pk_mul_f32 v[6:7], v[8:9], v[6:7]
	v_div_scale_f32 v8, s4, v20, v29, v20
	v_div_fmas_f32 v22, v22, v31, v32
	s_mov_b32 vcc_lo, s2
	v_fma_f32 v9, -v36, v10, 1.0
	v_div_scale_f32 v24, null, v23, v23, v7
	v_div_fmas_f32 v4, v4, v30, v25
	s_delay_alu instid0(VALU_DEP_3) | instskip(NEXT) | instid1(VALU_DEP_3)
	v_dual_fma_f32 v25, -v27, v37, v35 :: v_dual_fmac_f32 v10, v9, v10
	v_rcp_f32_e32 v9, v24
	v_mul_f32_e32 v30, v8, v33
	v_div_scale_f32 v31, s2, v21, v38, v21
	s_delay_alu instid0(VALU_DEP_3) | instskip(SKIP_1) | instid1(TRANS32_DEP_1)
	v_fmac_f32_e32 v37, v25, v11
	v_div_scale_f32 v32, null, v23, v23, v6
	v_fma_f32 v40, -v24, v9, 1.0
	s_delay_alu instid0(VALU_DEP_3) | instskip(SKIP_1) | instid1(VALU_DEP_3)
	v_dual_fma_f32 v25, -v17, v30, v8 :: v_dual_fma_f32 v27, -v27, v37, v35
	v_div_scale_f32 v35, s5, v7, v23, v7
	v_dual_fmac_f32 v9, v40, v9 :: v_dual_mul_f32 v39, v31, v10
	s_delay_alu instid0(VALU_DEP_3) | instskip(SKIP_2) | instid1(VALU_DEP_1)
	v_fmac_f32_e32 v30, v25, v33
	v_rcp_f32_e32 v41, v32
	s_mov_b32 vcc_lo, s3
	v_dual_fma_f32 v25, -v36, v39, v31 :: v_dual_fma_f32 v8, -v17, v30, v8
	v_div_fmas_f32 v11, v27, v11, v37
	v_mul_f32_e32 v17, v35, v9
	s_mov_b32 vcc_lo, s4
	s_delay_alu instid0(VALU_DEP_3) | instskip(SKIP_3) | instid1(VALU_DEP_3)
	v_fmac_f32_e32 v39, v25, v10
	v_div_scale_f32 v25, s3, v6, v23, v6
	v_div_fmas_f32 v8, v8, v33, v30
	s_mov_b32 vcc_lo, s2
	v_fma_f32 v27, -v36, v39, v31
	v_fma_f32 v40, -v32, v41, 1.0
	v_fma_f32 v31, -v24, v17, v35
	v_div_fixup_f32 v20, v8, v29, v20
	s_delay_alu instid0(VALU_DEP_4) | instskip(SKIP_2) | instid1(VALU_DEP_2)
	v_div_fmas_f32 v10, v27, v10, v39
	s_mov_b32 vcc_lo, s5
	v_div_fixup_f32 v27, v22, v29, v28
	v_div_fixup_f32 v10, v10, v38, v21
	v_fmac_f32_e32 v41, v40, v41
	s_delay_alu instid0(VALU_DEP_3) | instskip(NEXT) | instid1(VALU_DEP_2)
	v_pk_add_f32 v[2:3], v[2:3], v[26:27]
	v_dual_add_f32 v10, v34, v10 :: v_dual_mul_f32 v30, v25, v41
	v_fmac_f32_e32 v17, v31, v9
	s_delay_alu instid0(VALU_DEP_2) | instskip(NEXT) | instid1(VALU_DEP_2)
	v_fma_f32 v33, -v32, v30, v25
	v_fma_f32 v8, -v24, v17, v35
	s_delay_alu instid0(VALU_DEP_2) | instskip(NEXT) | instid1(VALU_DEP_2)
	v_fmac_f32_e32 v30, v33, v41
	v_div_fmas_f32 v17, v8, v9, v17
	s_mov_b32 vcc_lo, s3
	v_div_fixup_f32 v9, v4, v23, v19
	v_div_fixup_f32 v8, v11, v23, v18
	v_fma_f32 v21, -v32, v30, v25
	v_add_f32_e32 v4, v20, v10
	v_div_fixup_f32 v7, v17, v23, v7
	s_delay_alu instid0(VALU_DEP_4) | instskip(NEXT) | instid1(VALU_DEP_4)
	v_pk_add_f32 v[10:11], v[8:9], v[2:3]
	v_div_fmas_f32 v21, v21, v41, v30
	v_cmp_lt_f32_e32 vcc_lo, v15, v16
	v_mov_b32_e32 v2, v23
	s_delay_alu instid0(VALU_DEP_3) | instskip(SKIP_2) | instid1(VALU_DEP_3)
	v_div_fixup_f32 v6, v21, v23, v6
	v_cndmask_b32_e32 v15, v15, v16, vcc_lo
	v_cmp_lt_f32_e32 vcc_lo, v13, v14
	v_pk_add_f32 v[4:5], v[4:5], v[6:7]
	v_cndmask_b32_e32 v14, v14, v13, vcc_lo
.LBB9_109:
	s_or_b32 exec_lo, exec_lo, s7
	v_cmp_gt_u32_e32 vcc_lo, 24, v1
	s_mov_b32 s7, exec_lo
	v_cndmask_b32_e64 v3, 0, 8, vcc_lo
	s_delay_alu instid0(VALU_DEP_1)
	v_add_lshl_u32 v3, v3, v1, 2
	s_wait_dscnt 0x6
	ds_bpermute_b32 v7, v3, v2
	s_wait_dscnt 0x6
	ds_bpermute_b32 v13, v3, v14
	;; [unrolled: 2-line block ×7, first 2 shown]
	v_add_nc_u32_e32 v3, 8, v1
	s_delay_alu instid0(VALU_DEP_1)
	v_cmpx_lt_u32_e64 v3, v12
	s_cbranch_execz .LBB9_111
; %bb.110:
	s_wait_dscnt 0x2
	v_pk_mul_f32 v[18:19], v[10:11], v[6:7]
	s_wait_dscnt 0x0
	v_dual_mov_b32 v3, v10 :: v_dual_add_f32 v34, v4, v8
	v_dual_mul_f32 v18, v2, v6 :: v_dual_mul_f32 v8, v2, v17
	s_delay_alu instid0(VALU_DEP_3) | instskip(SKIP_1) | instid1(VALU_DEP_3)
	v_dual_mov_b32 v4, v19 :: v_dual_mov_b32 v20, v2
	v_dual_mov_b32 v21, v7 :: v_dual_add_f32 v23, v2, v7
	v_pk_fma_f32 v[18:19], v[2:3], v[6:7], v[18:19] op_sel_hi:[1,1,0] neg_lo:[1,0,0] neg_hi:[1,0,0]
	v_mov_b32_e32 v3, 0x40400000
	s_delay_alu instid0(VALU_DEP_4) | instskip(SKIP_2) | instid1(VALU_DEP_4)
	v_pk_add_f32 v[8:9], v[8:9], v[4:5] neg_lo:[0,1] neg_hi:[0,1]
	v_mul_f32_e32 v4, v7, v7
	v_dual_mov_b32 v31, v23 :: v_dual_mov_b32 v18, v7
	v_pk_mul_f32 v[24:25], v[2:3], v[20:21] op_sel_hi:[0,1]
	s_delay_alu instid0(VALU_DEP_4) | instskip(SKIP_3) | instid1(VALU_DEP_4)
	v_pk_mul_f32 v[26:27], v[8:9], v[8:9]
	v_sub_f32_e32 v22, v2, v7
	v_mov_b32_e32 v26, v6
	v_pk_mul_f32 v[28:29], v[10:11], v[4:5] op_sel_hi:[1,0]
	v_dual_mov_b32 v25, v24 :: v_dual_mul_f32 v4, v9, v27
	v_dual_mov_b32 v33, v9 :: v_dual_mov_b32 v32, v27
	s_delay_alu instid0(VALU_DEP_2) | instskip(NEXT) | instid1(VALU_DEP_3)
	v_pk_fma_f32 v[20:21], v[2:3], v[20:21], v[24:25] op_sel_hi:[0,1,1] neg_lo:[1,0,0] neg_hi:[1,0,0]
	v_dual_mul_f32 v20, v2, v4 :: v_dual_mov_b32 v25, v7
	s_delay_alu instid0(VALU_DEP_3) | instskip(SKIP_1) | instid1(VALU_DEP_3)
	v_pk_mul_f32 v[32:33], v[2:3], v[32:33]
	v_mul_f32_e32 v3, v9, v4
	v_dual_mov_b32 v29, v21 :: v_dual_mul_f32 v30, v20, v7
	v_mov_b32_e32 v20, v27
	s_delay_alu instid0(VALU_DEP_4) | instskip(NEXT) | instid1(VALU_DEP_4)
	v_pk_mul_f32 v[18:19], v[32:33], v[18:19]
	v_mul_f32_e32 v21, v2, v3
	s_delay_alu instid0(VALU_DEP_4) | instskip(SKIP_4) | instid1(VALU_DEP_4)
	v_pk_fma_f32 v[24:25], v[24:25], v[6:7], v[28:29]
	v_pk_mul_f32 v[28:29], v[22:23], v[30:31]
	v_mov_b32_e32 v6, 0x40c00000
	v_div_scale_f32 v4, null, v23, v23, v19
	v_div_scale_f32 v27, null, v23, v23, v18
	;; [unrolled: 1-line block ×3, first 2 shown]
	s_delay_alu instid0(VALU_DEP_3) | instskip(SKIP_2) | instid1(VALU_DEP_3)
	v_rcp_f32_e32 v30, v4
	v_pk_mul_f32 v[20:21], v[20:21], v[6:7]
	v_div_scale_f32 v6, s2, v19, v23, v19
	v_rcp_f32_e32 v31, v22
	v_div_scale_f32 v35, s3, v18, v23, v18
	s_delay_alu instid0(TRANS32_DEP_2) | instskip(SKIP_3) | instid1(TRANS32_DEP_1)
	v_fma_f32 v2, -v4, v30, 1.0
	v_add_f32_e32 v3, v11, v17
	v_pk_mul_f32 v[20:21], v[20:21], v[24:25]
	v_div_scale_f32 v24, vcc_lo, v28, v29, v28
	v_fma_f32 v17, -v22, v31, 1.0
	v_fmac_f32_e32 v30, v2, v30
	v_rcp_f32_e32 v11, v27
	s_delay_alu instid0(VALU_DEP_2) | instskip(NEXT) | instid1(VALU_DEP_2)
	v_dual_mov_b32 v2, v10 :: v_dual_fmac_f32 v31, v17, v31
	v_mul_f32_e32 v25, v6, v30
	v_div_scale_f32 v17, null, v29, v29, v20
	s_delay_alu instid0(TRANS32_DEP_1) | instskip(NEXT) | instid1(VALU_DEP_4)
	v_fma_f32 v10, -v27, v11, 1.0
	v_mul_f32_e32 v32, v24, v31
	s_delay_alu instid0(VALU_DEP_4) | instskip(NEXT) | instid1(VALU_DEP_4)
	v_fma_f32 v36, -v4, v25, v6
	v_rcp_f32_e32 v33, v17
	s_delay_alu instid0(VALU_DEP_3) | instskip(NEXT) | instid1(VALU_DEP_2)
	v_dual_mul_f32 v38, v23, v29 :: v_dual_fmac_f32 v11, v10, v11
	v_dual_fma_f32 v37, -v22, v32, v24 :: v_dual_fmac_f32 v25, v36, v30
	s_delay_alu instid0(VALU_DEP_2) | instskip(NEXT) | instid1(VALU_DEP_2)
	v_div_scale_f32 v36, null, v38, v38, v21
	v_fmac_f32_e32 v32, v37, v31
	s_delay_alu instid0(TRANS32_DEP_1) | instskip(NEXT) | instid1(VALU_DEP_4)
	v_fma_f32 v10, -v17, v33, 1.0
	v_dual_mul_f32 v37, v35, v11 :: v_dual_fma_f32 v4, -v4, v25, v6
	s_delay_alu instid0(VALU_DEP_3) | instskip(NEXT) | instid1(VALU_DEP_3)
	v_dual_mul_f32 v6, 4.0, v9 :: v_dual_fma_f32 v22, -v22, v32, v24
	v_fmac_f32_e32 v33, v10, v33
	v_rcp_f32_e32 v10, v36
	s_delay_alu instid0(VALU_DEP_2) | instskip(SKIP_3) | instid1(TRANS32_DEP_1)
	v_pk_mul_f32 v[6:7], v[8:9], v[6:7]
	v_div_scale_f32 v8, s4, v20, v29, v20
	v_div_fmas_f32 v22, v22, v31, v32
	s_mov_b32 vcc_lo, s2
	v_fma_f32 v9, -v36, v10, 1.0
	v_div_scale_f32 v24, null, v23, v23, v7
	v_div_fmas_f32 v4, v4, v30, v25
	s_delay_alu instid0(VALU_DEP_3) | instskip(NEXT) | instid1(VALU_DEP_3)
	v_dual_fma_f32 v25, -v27, v37, v35 :: v_dual_fmac_f32 v10, v9, v10
	v_rcp_f32_e32 v9, v24
	v_mul_f32_e32 v30, v8, v33
	v_div_scale_f32 v31, s2, v21, v38, v21
	s_delay_alu instid0(VALU_DEP_3) | instskip(SKIP_1) | instid1(TRANS32_DEP_1)
	v_fmac_f32_e32 v37, v25, v11
	v_div_scale_f32 v32, null, v23, v23, v6
	v_fma_f32 v40, -v24, v9, 1.0
	s_delay_alu instid0(VALU_DEP_3) | instskip(SKIP_1) | instid1(VALU_DEP_3)
	v_dual_fma_f32 v25, -v17, v30, v8 :: v_dual_fma_f32 v27, -v27, v37, v35
	v_div_scale_f32 v35, s5, v7, v23, v7
	v_dual_fmac_f32 v9, v40, v9 :: v_dual_mul_f32 v39, v31, v10
	s_delay_alu instid0(VALU_DEP_3) | instskip(SKIP_2) | instid1(VALU_DEP_1)
	v_fmac_f32_e32 v30, v25, v33
	v_rcp_f32_e32 v41, v32
	s_mov_b32 vcc_lo, s3
	v_dual_fma_f32 v25, -v36, v39, v31 :: v_dual_fma_f32 v8, -v17, v30, v8
	v_div_fmas_f32 v11, v27, v11, v37
	v_mul_f32_e32 v17, v35, v9
	s_mov_b32 vcc_lo, s4
	s_delay_alu instid0(VALU_DEP_3) | instskip(SKIP_3) | instid1(VALU_DEP_3)
	v_fmac_f32_e32 v39, v25, v10
	v_div_scale_f32 v25, s3, v6, v23, v6
	v_div_fmas_f32 v8, v8, v33, v30
	s_mov_b32 vcc_lo, s2
	v_fma_f32 v27, -v36, v39, v31
	v_fma_f32 v40, -v32, v41, 1.0
	v_fma_f32 v31, -v24, v17, v35
	v_div_fixup_f32 v20, v8, v29, v20
	s_delay_alu instid0(VALU_DEP_4) | instskip(SKIP_2) | instid1(VALU_DEP_2)
	v_div_fmas_f32 v10, v27, v10, v39
	s_mov_b32 vcc_lo, s5
	v_div_fixup_f32 v27, v22, v29, v28
	v_div_fixup_f32 v10, v10, v38, v21
	v_fmac_f32_e32 v41, v40, v41
	s_delay_alu instid0(VALU_DEP_3) | instskip(NEXT) | instid1(VALU_DEP_2)
	v_pk_add_f32 v[2:3], v[2:3], v[26:27]
	v_dual_add_f32 v10, v34, v10 :: v_dual_mul_f32 v30, v25, v41
	v_fmac_f32_e32 v17, v31, v9
	s_delay_alu instid0(VALU_DEP_2) | instskip(NEXT) | instid1(VALU_DEP_2)
	v_fma_f32 v33, -v32, v30, v25
	v_fma_f32 v8, -v24, v17, v35
	s_delay_alu instid0(VALU_DEP_2) | instskip(NEXT) | instid1(VALU_DEP_2)
	v_fmac_f32_e32 v30, v33, v41
	v_div_fmas_f32 v17, v8, v9, v17
	s_mov_b32 vcc_lo, s3
	v_div_fixup_f32 v9, v4, v23, v19
	v_div_fixup_f32 v8, v11, v23, v18
	v_fma_f32 v21, -v32, v30, v25
	v_add_f32_e32 v4, v20, v10
	v_div_fixup_f32 v7, v17, v23, v7
	s_delay_alu instid0(VALU_DEP_4) | instskip(NEXT) | instid1(VALU_DEP_4)
	v_pk_add_f32 v[10:11], v[8:9], v[2:3]
	v_div_fmas_f32 v21, v21, v41, v30
	v_cmp_lt_f32_e32 vcc_lo, v15, v16
	v_mov_b32_e32 v2, v23
	s_delay_alu instid0(VALU_DEP_3) | instskip(SKIP_2) | instid1(VALU_DEP_3)
	v_div_fixup_f32 v6, v21, v23, v6
	v_cndmask_b32_e32 v15, v15, v16, vcc_lo
	v_cmp_lt_f32_e32 vcc_lo, v13, v14
	v_pk_add_f32 v[4:5], v[4:5], v[6:7]
	v_cndmask_b32_e32 v14, v14, v13, vcc_lo
.LBB9_111:
	s_or_b32 exec_lo, exec_lo, s7
	s_wait_dscnt 0x0
	v_dual_lshlrev_b32 v18, 2, v1 :: v_dual_add_nc_u32 v8, 16, v1
	s_mov_b32 s7, exec_lo
	s_delay_alu instid0(VALU_DEP_1)
	v_or_b32_e32 v3, 64, v18
	ds_bpermute_b32 v7, v3, v2
	ds_bpermute_b32 v13, v3, v14
	;; [unrolled: 1-line block ×7, first 2 shown]
	v_cmpx_lt_u32_e64 v8, v12
	s_cbranch_execz .LBB9_113
; %bb.112:
	s_wait_dscnt 0x2
	v_pk_mul_f32 v[20:21], v[10:11], v[6:7]
	s_wait_dscnt 0x0
	v_dual_add_f32 v38, v4, v3 :: v_dual_mul_f32 v8, v2, v17
	v_dual_mov_b32 v23, v7 :: v_dual_mov_b32 v25, v7
	s_delay_alu instid0(VALU_DEP_3) | instskip(SKIP_2) | instid1(VALU_DEP_3)
	v_dual_mov_b32 v4, v21 :: v_dual_add_f32 v21, v2, v7
	v_dual_sub_f32 v20, v2, v7 :: v_dual_mul_f32 v12, v2, v6
	v_dual_mov_b32 v3, v10 :: v_dual_mov_b32 v22, v2
	v_pk_add_f32 v[8:9], v[8:9], v[4:5] neg_lo:[0,1] neg_hi:[0,1]
	v_dual_mul_f32 v4, v7, v7 :: v_dual_mov_b32 v26, v6
	s_delay_alu instid0(VALU_DEP_3) | instskip(NEXT) | instid1(VALU_DEP_3)
	v_pk_fma_f32 v[28:29], v[2:3], v[6:7], v[12:13] op_sel_hi:[1,1,0] neg_lo:[1,0,0] neg_hi:[1,0,0]
	v_dual_mov_b32 v3, 0x40400000 :: v_dual_mul_f32 v24, 4.0, v9
	s_delay_alu instid0(VALU_DEP_3) | instskip(SKIP_2) | instid1(VALU_DEP_4)
	v_pk_mul_f32 v[30:31], v[10:11], v[4:5] op_sel_hi:[1,0]
	v_pk_mul_f32 v[36:37], v[8:9], v[8:9]
	v_dual_mov_b32 v33, v21 :: v_dual_mov_b32 v28, v7
	v_pk_mul_f32 v[24:25], v[8:9], v[24:25]
	v_pk_mul_f32 v[34:35], v[2:3], v[22:23] op_sel_hi:[0,1]
	v_mov_b32_e32 v35, v7
	s_delay_alu instid0(VALU_DEP_3) | instskip(NEXT) | instid1(VALU_DEP_4)
	v_div_scale_f32 v4, null, v21, v21, v25
	v_div_scale_f32 v12, null, v21, v21, v24
	s_delay_alu instid0(VALU_DEP_4) | instskip(NEXT) | instid1(VALU_DEP_3)
	v_mov_b32_e32 v19, v34
	v_rcp_f32_e32 v27, v4
	v_div_scale_f32 v39, vcc_lo, v25, v21, v25
	s_delay_alu instid0(VALU_DEP_3) | instskip(NEXT) | instid1(VALU_DEP_2)
	v_rcp_f32_e32 v36, v12
	v_pk_fma_f32 v[22:23], v[2:3], v[22:23], v[18:19] op_sel_hi:[0,1,1] neg_lo:[1,0,0] neg_hi:[1,0,0]
	v_div_scale_f32 v40, s2, v24, v21, v24
	s_delay_alu instid0(TRANS32_DEP_2) | instskip(SKIP_1) | instid1(TRANS32_DEP_1)
	v_fma_f32 v22, -v4, v27, 1.0
	v_mul_f32_e32 v19, v9, v37
	v_fma_f32 v31, -v12, v36, 1.0
	s_delay_alu instid0(VALU_DEP_3) | instskip(NEXT) | instid1(VALU_DEP_2)
	v_dual_fmac_f32 v27, v22, v27 :: v_dual_mov_b32 v8, v37
	v_dual_mul_f32 v32, v2, v19 :: v_dual_fmac_f32 v36, v31, v36
	v_dual_mul_f32 v19, v9, v19 :: v_dual_mov_b32 v31, v23
	s_delay_alu instid0(VALU_DEP_3) | instskip(NEXT) | instid1(VALU_DEP_3)
	v_mul_f32_e32 v41, v39, v27
	v_mul_f32_e32 v32, v32, v7
	s_delay_alu instid0(VALU_DEP_4) | instskip(SKIP_2) | instid1(VALU_DEP_4)
	v_mul_f32_e32 v42, v40, v36
	v_pk_mul_f32 v[8:9], v[2:3], v[8:9]
	v_pk_fma_f32 v[22:23], v[34:35], v[6:7], v[30:31]
	v_pk_mul_f32 v[30:31], v[20:21], v[32:33]
	s_delay_alu instid0(VALU_DEP_4) | instskip(SKIP_2) | instid1(VALU_DEP_4)
	v_fma_f32 v6, -v12, v42, v40
	v_fma_f32 v3, -v4, v41, v39
	v_pk_mul_f32 v[8:9], v[8:9], v[28:29]
	v_div_scale_f32 v20, null, v31, v31, v30
	s_delay_alu instid0(VALU_DEP_3) | instskip(SKIP_1) | instid1(VALU_DEP_3)
	v_dual_fmac_f32 v42, v6, v36 :: v_dual_fmac_f32 v41, v3, v27
	v_mul_f32_e32 v3, v2, v19
	v_rcp_f32_e32 v29, v20
	s_delay_alu instid0(VALU_DEP_2) | instskip(NEXT) | instid1(VALU_DEP_3)
	v_dual_mov_b32 v2, v37 :: v_dual_fma_f32 v12, -v12, v42, v40
	v_fma_f32 v4, -v4, v41, v39
	v_div_scale_f32 v28, null, v21, v21, v9
	s_delay_alu instid0(TRANS32_DEP_1) | instskip(SKIP_1) | instid1(VALU_DEP_4)
	v_fma_f32 v19, -v20, v29, 1.0
	v_mov_b32_e32 v6, 0x40c00000
	v_div_fmas_f32 v4, v4, v27, v41
	s_delay_alu instid0(VALU_DEP_4)
	v_rcp_f32_e32 v27, v28
	s_mov_b32 vcc_lo, s2
	v_fmac_f32_e32 v29, v19, v29
	v_pk_mul_f32 v[2:3], v[2:3], v[6:7]
	v_div_fmas_f32 v12, v12, v36, v42
	v_div_scale_f32 v6, vcc_lo, v30, v31, v30
	s_delay_alu instid0(TRANS32_DEP_1) | instskip(NEXT) | instid1(VALU_DEP_4)
	v_fma_f32 v7, -v28, v27, 1.0
	v_pk_mul_f32 v[2:3], v[2:3], v[22:23]
	v_div_scale_f32 v19, null, v21, v21, v8
	s_delay_alu instid0(VALU_DEP_4) | instskip(NEXT) | instid1(VALU_DEP_3)
	v_dual_mul_f32 v23, v21, v31 :: v_dual_mul_f32 v32, v6, v29
	v_div_scale_f32 v22, null, v31, v31, v2
	s_delay_alu instid0(VALU_DEP_3) | instskip(NEXT) | instid1(VALU_DEP_2)
	v_rcp_f32_e32 v33, v19
	v_dual_fmac_f32 v27, v7, v27 :: v_dual_fma_f32 v37, -v20, v32, v6
	s_delay_alu instid0(VALU_DEP_2) | instskip(SKIP_2) | instid1(TRANS32_DEP_2)
	v_rcp_f32_e32 v7, v22
	v_div_scale_f32 v35, null, v23, v23, v3
	v_div_scale_f32 v34, s2, v9, v21, v9
	v_fma_f32 v36, -v19, v33, 1.0
	s_delay_alu instid0(VALU_DEP_3) | instskip(NEXT) | instid1(TRANS32_DEP_2)
	v_rcp_f32_e32 v41, v35
	v_fma_f32 v40, -v22, v7, 1.0
	s_delay_alu instid0(VALU_DEP_3) | instskip(NEXT) | instid1(VALU_DEP_3)
	v_dual_mul_f32 v39, v34, v27 :: v_dual_fmac_f32 v32, v37, v29
	v_fmac_f32_e32 v33, v36, v33
	v_div_scale_f32 v36, s3, v8, v21, v8
	s_delay_alu instid0(VALU_DEP_4) | instskip(SKIP_2) | instid1(VALU_DEP_1)
	v_fmac_f32_e32 v7, v40, v7
	v_div_scale_f32 v40, s4, v2, v31, v2
	v_fma_f32 v42, -v35, v41, 1.0
	v_dual_fma_f32 v37, -v28, v39, v34 :: v_dual_fmac_f32 v41, v42, v41
	s_delay_alu instid0(VALU_DEP_1) | instskip(SKIP_2) | instid1(VALU_DEP_3)
	v_dual_mul_f32 v43, v36, v33 :: v_dual_fmac_f32 v39, v37, v27
	v_div_scale_f32 v42, s5, v3, v23, v3
	v_mul_f32_e32 v44, v40, v7
	v_dual_fma_f32 v6, -v20, v32, v6 :: v_dual_fma_f32 v20, -v19, v43, v36
	s_delay_alu instid0(VALU_DEP_3) | instskip(NEXT) | instid1(VALU_DEP_3)
	v_mul_f32_e32 v45, v42, v41
	v_fma_f32 v37, -v22, v44, v40
	s_delay_alu instid0(VALU_DEP_3) | instskip(SKIP_4) | instid1(VALU_DEP_3)
	v_div_fmas_f32 v29, v6, v29, v32
	v_fma_f32 v6, -v28, v39, v34
	v_fmac_f32_e32 v43, v20, v33
	s_mov_b32 vcc_lo, s2
	v_dual_fmac_f32 v44, v37, v7 :: v_dual_fma_f32 v20, -v35, v45, v42
	v_div_fmas_f32 v28, v6, v27, v39
	s_delay_alu instid0(VALU_DEP_3) | instskip(SKIP_1) | instid1(VALU_DEP_3)
	v_fma_f32 v6, -v19, v43, v36
	s_mov_b32 vcc_lo, s3
	v_dual_fma_f32 v19, -v22, v44, v40 :: v_dual_fmac_f32 v45, v20, v41
	v_div_fixup_f32 v27, v29, v31, v30
	s_delay_alu instid0(VALU_DEP_3)
	v_div_fmas_f32 v20, v6, v33, v43
	s_mov_b32 vcc_lo, s4
	v_div_fixup_f32 v9, v28, v21, v9
	v_fma_f32 v6, -v35, v45, v42
	v_div_fmas_f32 v19, v19, v7, v44
	s_mov_b32 vcc_lo, s5
	v_add_f32_e32 v7, v11, v17
	v_div_fixup_f32 v8, v20, v21, v8
	v_div_fmas_f32 v6, v6, v41, v45
	v_cmp_lt_f32_e32 vcc_lo, v15, v16
	s_delay_alu instid0(VALU_DEP_2)
	v_div_fixup_f32 v11, v6, v23, v3
	v_mov_b32_e32 v6, v10
	v_div_fixup_f32 v3, v4, v21, v25
	v_div_fixup_f32 v4, v19, v31, v2
	;; [unrolled: 1-line block ×3, first 2 shown]
	v_add_f32_e32 v10, v38, v11
	v_pk_add_f32 v[6:7], v[6:7], v[26:27]
	v_cndmask_b32_e32 v15, v15, v16, vcc_lo
	v_cmp_lt_f32_e32 vcc_lo, v13, v14
	s_delay_alu instid0(VALU_DEP_4) | instskip(NEXT) | instid1(VALU_DEP_4)
	v_add_f32_e32 v4, v4, v10
	v_pk_add_f32 v[10:11], v[8:9], v[6:7]
	v_cndmask_b32_e32 v14, v14, v13, vcc_lo
	s_delay_alu instid0(VALU_DEP_3)
	v_pk_add_f32 v[4:5], v[4:5], v[2:3]
	v_mov_b32_e32 v2, v21
.LBB9_113:
	s_or_b32 exec_lo, exec_lo, s7
	s_delay_alu instid0(SALU_CYCLE_1)
	s_mov_b32 s2, exec_lo
	v_cmpx_eq_u32_e32 0, v1
	s_cbranch_execz .LBB9_115
; %bb.114:
	s_wait_dscnt 0x0
	v_lshrrev_b32_e32 v3, 5, v0
	s_delay_alu instid0(VALU_DEP_1)
	v_mul_u32_u24_e32 v3, 28, v3
	ds_store_b32 v3, v2
	ds_store_2addr_b32 v3, v14, v15 offset0:1 offset1:2
	ds_store_2addr_b32 v3, v5, v10 offset0:3 offset1:4
	;; [unrolled: 1-line block ×3, first 2 shown]
.LBB9_115:
	s_or_b32 exec_lo, exec_lo, s2
	s_delay_alu instid0(SALU_CYCLE_1)
	s_mov_b32 s7, exec_lo
	s_wait_dscnt 0x0
	s_barrier_signal -1
	s_barrier_wait -1
	v_cmpx_gt_u32_e32 8, v0
	s_cbranch_execz .LBB9_123
; %bb.116:
	v_mul_u32_u24_e32 v4, 28, v1
	s_add_co_i32 s6, s6, 31
	ds_load_2addr_b32 v[2:3], v4 offset1:3
	ds_load_2addr_b32 v[14:15], v4 offset0:1 offset1:2
	v_and_b32_e32 v19, 7, v1
	ds_load_2addr_b32 v[10:11], v4 offset0:4 offset1:5
	ds_load_b32 v4, v4 offset:24
	s_lshr_b32 s6, s6, 5
	v_cmp_ne_u32_e32 vcc_lo, 7, v19
	v_add_co_ci_u32_e64 v5, null, 0, v1, vcc_lo
	s_wait_dscnt 0x3
	s_delay_alu instid0(VALU_DEP_1)
	v_dual_lshlrev_b32 v5, 2, v5 :: v_dual_mov_b32 v7, v2
	v_mov_b64_e32 v[16:17], v[2:3]
	ds_bpermute_b32 v9, v5, v2
	s_wait_dscnt 0x3
	ds_bpermute_b32 v20, v5, v14
	ds_bpermute_b32 v21, v5, v15
	;; [unrolled: 1-line block ×3, first 2 shown]
	s_wait_dscnt 0x5
	ds_bpermute_b32 v8, v5, v10
	ds_bpermute_b32 v6, v5, v11
	s_wait_dscnt 0x6
	ds_bpermute_b32 v22, v5, v4
	v_add_nc_u32_e32 v5, 1, v19
	s_delay_alu instid0(VALU_DEP_1)
	v_cmp_gt_u32_e32 vcc_lo, s6, v5
	v_mov_b32_e32 v5, v3
	s_and_saveexec_b32 s8, vcc_lo
	s_cbranch_execz .LBB9_118
; %bb.117:
	s_wait_dscnt 0x2
	v_pk_mul_f32 v[16:17], v[10:11], v[8:9]
	s_wait_dscnt 0x1
	v_dual_mul_f32 v12, v2, v6 :: v_dual_mov_b32 v27, v3
	v_dual_add_f32 v7, v2, v9 :: v_dual_add_f32 v25, v11, v6
	s_delay_alu instid0(VALU_DEP_3) | instskip(SKIP_2) | instid1(VALU_DEP_3)
	v_dual_mov_b32 v26, v17 :: v_dual_sub_f32 v6, v2, v9
	v_dual_mov_b32 v28, v2 :: v_dual_mov_b32 v29, v9
	v_dual_mov_b32 v16, v2 :: v_dual_mov_b32 v17, v10
	v_pk_add_f32 v[12:13], v[12:13], v[26:27] neg_lo:[0,1] neg_hi:[0,1]
	v_mov_b32_e32 v26, v2
	s_delay_alu instid0(VALU_DEP_4) | instskip(SKIP_1) | instid1(VALU_DEP_4)
	v_pk_mul_f32 v[32:33], v[2:3], v[28:29] op_sel_hi:[0,1]
	v_dual_mul_f32 v24, v2, v8 :: v_dual_mov_b32 v27, 0x40400000
	v_pk_mul_f32 v[30:31], v[12:13], v[12:13]
	v_dual_mul_f32 v30, v9, v9 :: v_dual_mov_b32 v34, v8
	s_delay_alu instid0(VALU_DEP_4) | instskip(NEXT) | instid1(VALU_DEP_3)
	v_dual_mov_b32 v5, v32 :: v_dual_mov_b32 v37, v13
	v_dual_mul_f32 v23, v13, v31 :: v_dual_mov_b32 v36, v31
	s_delay_alu instid0(VALU_DEP_3) | instskip(SKIP_1) | instid1(VALU_DEP_3)
	v_pk_mul_f32 v[38:39], v[10:11], v[30:31] op_sel_hi:[1,0]
	v_pk_fma_f32 v[16:17], v[16:17], v[8:9], v[24:25] op_sel_hi:[1,1,0] neg_lo:[1,0,0] neg_hi:[1,0,0]
	v_dual_mov_b32 v16, v9 :: v_dual_mul_f32 v11, v2, v23
	v_pk_fma_f32 v[28:29], v[2:3], v[28:29], v[4:5] op_sel_hi:[0,1,1] neg_lo:[1,0,0] neg_hi:[1,0,0]
	v_pk_mul_f32 v[26:27], v[26:27], v[36:37]
	v_dual_mov_b32 v37, v7 :: v_dual_mov_b32 v33, v9
	s_delay_alu instid0(VALU_DEP_3) | instskip(NEXT) | instid1(VALU_DEP_3)
	v_dual_mul_f32 v36, v11, v9 :: v_dual_mov_b32 v39, v29
	v_pk_mul_f32 v[16:17], v[26:27], v[16:17]
	v_dual_mul_f32 v5, v13, v23 :: v_dual_mov_b32 v26, v31
	s_delay_alu instid0(VALU_DEP_3) | instskip(NEXT) | instid1(VALU_DEP_4)
	v_pk_mul_f32 v[28:29], v[6:7], v[36:37]
	v_pk_fma_f32 v[30:31], v[32:33], v[8:9], v[38:39]
	s_delay_alu instid0(VALU_DEP_4) | instskip(SKIP_1) | instid1(VALU_DEP_4)
	v_div_scale_f32 v6, null, v7, v7, v17
	v_mov_b32_e32 v8, 0x40c00000
	v_div_scale_f32 v11, null, v29, v29, v28
	v_mul_f32_e32 v27, v2, v5
	s_delay_alu instid0(VALU_DEP_4) | instskip(SKIP_1) | instid1(VALU_DEP_3)
	v_rcp_f32_e32 v2, v6
	v_div_scale_f32 v24, null, v7, v7, v16
	v_rcp_f32_e32 v5, v11
	s_delay_alu instid0(VALU_DEP_2) | instskip(SKIP_1) | instid1(TRANS32_DEP_2)
	v_pk_mul_f32 v[26:27], v[26:27], v[8:9]
	v_div_scale_f32 v23, s2, v17, v7, v17
	v_fma_f32 v8, -v6, v2, 1.0
	v_div_scale_f32 v33, vcc_lo, v28, v29, v28
	s_delay_alu instid0(TRANS32_DEP_1) | instskip(SKIP_1) | instid1(VALU_DEP_3)
	v_fma_f32 v32, -v11, v5, 1.0
	v_rcp_f32_e32 v35, v24
	v_fmac_f32_e32 v2, v8, v2
	v_pk_mul_f32 v[26:27], v[26:27], v[30:31]
	v_div_scale_f32 v30, s3, v16, v7, v16
	s_delay_alu instid0(VALU_DEP_3) | instskip(NEXT) | instid1(VALU_DEP_3)
	v_dual_fmac_f32 v5, v32, v5 :: v_dual_mul_f32 v31, v23, v2
	v_div_scale_f32 v36, null, v29, v29, v26
	s_delay_alu instid0(TRANS32_DEP_1) | instskip(NEXT) | instid1(VALU_DEP_3)
	v_fma_f32 v8, -v24, v35, 1.0
	v_dual_mul_f32 v32, v33, v5 :: v_dual_fma_f32 v37, -v6, v31, v23
	v_mul_f32_e32 v39, v7, v29
	s_delay_alu instid0(VALU_DEP_4) | instskip(NEXT) | instid1(VALU_DEP_2)
	v_rcp_f32_e32 v40, v36
	v_dual_fmac_f32 v35, v8, v35 :: v_dual_fma_f32 v38, -v11, v32, v33
	s_delay_alu instid0(VALU_DEP_3) | instskip(NEXT) | instid1(VALU_DEP_3)
	v_fmac_f32_e32 v31, v37, v2
	v_div_scale_f32 v37, null, v39, v39, v27
	v_mul_f32_e32 v8, 4.0, v13
	s_delay_alu instid0(VALU_DEP_4)
	v_fmac_f32_e32 v32, v38, v5
	v_mul_f32_e32 v38, v30, v35
	v_fma_f32 v6, -v6, v31, v23
	v_fma_f32 v23, -v36, v40, 1.0
	v_pk_mul_f32 v[8:9], v[12:13], v[8:9]
	v_fma_f32 v11, -v11, v32, v33
	v_rcp_f32_e32 v33, v37
	s_delay_alu instid0(VALU_DEP_2) | instskip(NEXT) | instid1(VALU_DEP_2)
	v_div_scale_f32 v13, null, v7, v7, v9
	v_div_fmas_f32 v5, v11, v5, v32
	v_div_scale_f32 v11, s4, v26, v29, v26
	s_delay_alu instid0(TRANS32_DEP_1)
	v_fma_f32 v12, -v37, v33, 1.0
	v_fmac_f32_e32 v40, v23, v40
	s_mov_b32 vcc_lo, s2
	v_div_scale_f32 v32, null, v7, v7, v8
	v_div_fmas_f32 v6, v6, v2, v31
	v_fma_f32 v2, -v24, v38, v30
	v_dual_fmac_f32 v33, v12, v33 :: v_dual_mul_f32 v23, v11, v40
	v_div_scale_f32 v31, s2, v27, v39, v27
	v_rcp_f32_e32 v12, v13
	s_delay_alu instid0(VALU_DEP_3) | instskip(NEXT) | instid1(VALU_DEP_2)
	v_fmac_f32_e32 v38, v2, v35
	v_dual_fma_f32 v2, -v36, v23, v11 :: v_dual_mul_f32 v41, v31, v33
	v_rcp_f32_e32 v43, v32
	s_mov_b32 vcc_lo, s3
	s_delay_alu instid0(VALU_DEP_1) | instskip(NEXT) | instid1(TRANS32_DEP_2)
	v_dual_fma_f32 v24, -v24, v38, v30 :: v_dual_fmac_f32 v23, v2, v40
	v_fma_f32 v42, -v13, v12, 1.0
	v_fma_f32 v2, -v37, v41, v31
	v_div_scale_f32 v30, s5, v9, v7, v9
	s_delay_alu instid0(VALU_DEP_4) | instskip(NEXT) | instid1(VALU_DEP_4)
	v_div_fmas_f32 v38, v24, v35, v38
	v_fmac_f32_e32 v12, v42, v12
	v_fma_f32 v42, -v32, v43, 1.0
	v_dual_fma_f32 v11, -v36, v23, v11 :: v_dual_fmac_f32 v41, v2, v33
	s_mov_b32 vcc_lo, s4
	s_delay_alu instid0(VALU_DEP_3) | instskip(SKIP_1) | instid1(VALU_DEP_3)
	v_mul_f32_e32 v2, v30, v12
	v_div_scale_f32 v36, s3, v8, v7, v8
	v_div_fmas_f32 v11, v11, v40, v23
	v_fma_f32 v23, -v37, v41, v31
	s_delay_alu instid0(VALU_DEP_4) | instskip(SKIP_2) | instid1(VALU_DEP_3)
	v_dual_fmac_f32 v43, v42, v43 :: v_dual_fma_f32 v35, -v13, v2, v30
	s_mov_b32 vcc_lo, s2
	v_mov_b32_e32 v24, v10
	v_div_fmas_f32 v23, v23, v33, v41
	s_delay_alu instid0(VALU_DEP_3) | instskip(SKIP_2) | instid1(VALU_DEP_4)
	v_dual_mul_f32 v31, v36, v43 :: v_dual_fmac_f32 v2, v35, v12
	v_div_fixup_f32 v35, v5, v29, v28
	v_div_fixup_f32 v5, v11, v29, v26
	v_div_fixup_f32 v10, v23, v39, v27
	s_delay_alu instid0(VALU_DEP_4) | instskip(SKIP_3) | instid1(VALU_DEP_2)
	v_fma_f32 v33, -v32, v31, v36
	s_wait_dscnt 0x0
	v_add_f32_e32 v4, v4, v22
	s_mov_b32 vcc_lo, s5
	v_fmac_f32_e32 v31, v33, v43
	v_fma_f32 v11, -v13, v2, v30
	s_delay_alu instid0(VALU_DEP_3) | instskip(NEXT) | instid1(VALU_DEP_3)
	v_add_f32_e32 v4, v4, v10
	v_fma_f32 v10, -v32, v31, v36
	s_delay_alu instid0(VALU_DEP_3) | instskip(SKIP_1) | instid1(VALU_DEP_2)
	v_div_fmas_f32 v12, v11, v12, v2
	s_mov_b32 vcc_lo, s3
	v_div_fmas_f32 v13, v10, v43, v31
	v_cmp_lt_f32_e32 vcc_lo, v15, v21
	v_pk_add_f32 v[10:11], v[24:25], v[34:35]
	v_dual_cndmask_b32 v15, v15, v21 :: v_dual_add_f32 v2, v5, v4
	v_div_fixup_f32 v5, v12, v7, v9
	v_div_fixup_f32 v4, v13, v7, v8
	;; [unrolled: 1-line block ×4, first 2 shown]
	v_cmp_lt_f32_e32 vcc_lo, v20, v14
	s_delay_alu instid0(VALU_DEP_4) | instskip(SKIP_1) | instid1(VALU_DEP_4)
	v_pk_add_f32 v[4:5], v[2:3], v[4:5]
	v_mov_b32_e32 v2, v7
	v_pk_add_f32 v[10:11], v[8:9], v[10:11]
	v_cndmask_b32_e32 v14, v14, v20, vcc_lo
	s_delay_alu instid0(VALU_DEP_4)
	v_mov_b64_e32 v[16:17], v[4:5]
.LBB9_118:
	s_or_b32 exec_lo, exec_lo, s8
	v_cmp_gt_u32_e32 vcc_lo, 6, v19
	s_mov_b32 s8, exec_lo
	v_cndmask_b32_e64 v3, 0, 2, vcc_lo
	s_delay_alu instid0(VALU_DEP_1)
	v_add_lshl_u32 v3, v3, v1, 2
	s_wait_dscnt 0x6
	ds_bpermute_b32 v9, v3, v7
	ds_bpermute_b32 v1, v3, v14
	ds_bpermute_b32 v16, v3, v15
	s_wait_dscnt 0x6
	ds_bpermute_b32 v13, v3, v17
	s_wait_dscnt 0x6
	ds_bpermute_b32 v8, v3, v10
	ds_bpermute_b32 v20, v3, v11
	s_wait_dscnt 0x7
	ds_bpermute_b32 v6, v3, v4
	v_add_nc_u32_e32 v3, 2, v19
	s_delay_alu instid0(VALU_DEP_1)
	v_cmpx_gt_u32_e64 s6, v3
	s_cbranch_execz .LBB9_120
; %bb.119:
	s_wait_dscnt 0x2
	v_pk_mul_f32 v[22:23], v[10:11], v[8:9]
	s_wait_dscnt 0x0
	v_dual_mov_b32 v3, v10 :: v_dual_add_f32 v21, v4, v6
	v_mul_f32_e32 v22, v2, v8
	v_dual_mul_f32 v12, v2, v20 :: v_dual_mov_b32 v24, v2
	v_dual_mov_b32 v4, v23 :: v_dual_mov_b32 v25, v9
	v_add_f32_e32 v7, v2, v9
	s_delay_alu instid0(VALU_DEP_4) | instskip(SKIP_1) | instid1(VALU_DEP_4)
	v_pk_fma_f32 v[22:23], v[2:3], v[8:9], v[22:23] op_sel_hi:[1,1,0] neg_lo:[1,0,0] neg_hi:[1,0,0]
	v_mov_b32_e32 v3, 0x40400000
	v_pk_add_f32 v[12:13], v[12:13], v[4:5] neg_lo:[0,1] neg_hi:[0,1]
	s_delay_alu instid0(VALU_DEP_4) | instskip(SKIP_1) | instid1(VALU_DEP_4)
	v_dual_mul_f32 v4, v9, v9 :: v_dual_mov_b32 v33, v7
	v_mov_b32_e32 v22, v9
	v_pk_mul_f32 v[26:27], v[2:3], v[24:25] op_sel_hi:[0,1]
	s_delay_alu instid0(VALU_DEP_4) | instskip(NEXT) | instid1(VALU_DEP_4)
	v_pk_mul_f32 v[28:29], v[12:13], v[12:13]
	v_pk_mul_f32 v[30:31], v[10:11], v[4:5] op_sel_hi:[1,0]
	v_dual_mov_b32 v35, v13 :: v_dual_mov_b32 v27, v9
	s_delay_alu instid0(VALU_DEP_3) | instskip(SKIP_2) | instid1(VALU_DEP_3)
	v_dual_mov_b32 v17, v26 :: v_dual_mul_f32 v4, v13, v29
	v_dual_mov_b32 v34, v29 :: v_dual_sub_f32 v6, v2, v9
	v_mov_b32_e32 v28, v8
	v_pk_fma_f32 v[24:25], v[2:3], v[24:25], v[16:17] op_sel_hi:[0,1,1] neg_lo:[1,0,0] neg_hi:[1,0,0]
	s_delay_alu instid0(VALU_DEP_4) | instskip(NEXT) | instid1(VALU_DEP_4)
	v_mul_f32_e32 v17, v2, v4
	v_pk_mul_f32 v[34:35], v[2:3], v[34:35]
	v_mul_f32_e32 v3, v13, v4
	s_delay_alu instid0(VALU_DEP_4) | instskip(NEXT) | instid1(VALU_DEP_3)
	v_dual_mov_b32 v24, v29 :: v_dual_mov_b32 v31, v25
	v_pk_mul_f32 v[22:23], v[34:35], v[22:23]
	s_delay_alu instid0(VALU_DEP_2) | instskip(SKIP_2) | instid1(VALU_DEP_4)
	v_pk_fma_f32 v[26:27], v[26:27], v[8:9], v[30:31]
	v_mov_b32_e32 v8, 0x40c00000
	v_dual_mul_f32 v32, v17, v9 :: v_dual_mul_f32 v25, v2, v3
	v_div_scale_f32 v4, null, v7, v7, v23
	v_div_scale_f32 v17, s2, v23, v7, v23
	s_delay_alu instid0(VALU_DEP_3) | instskip(NEXT) | instid1(VALU_DEP_3)
	v_pk_mul_f32 v[30:31], v[6:7], v[32:33]
	v_rcp_f32_e32 v29, v4
	v_pk_mul_f32 v[2:3], v[24:25], v[8:9]
	v_div_scale_f32 v33, null, v7, v7, v22
	s_delay_alu instid0(VALU_DEP_3) | instskip(NEXT) | instid1(VALU_DEP_3)
	v_div_scale_f32 v6, null, v31, v31, v30
	v_pk_mul_f32 v[2:3], v[2:3], v[26:27]
	s_delay_alu instid0(TRANS32_DEP_1) | instskip(SKIP_1) | instid1(VALU_DEP_4)
	v_fma_f32 v24, -v4, v29, 1.0
	v_div_scale_f32 v35, vcc_lo, v30, v31, v30
	v_rcp_f32_e32 v32, v6
	v_rcp_f32_e32 v36, v33
	s_delay_alu instid0(VALU_DEP_2) | instskip(SKIP_1) | instid1(TRANS32_DEP_2)
	v_dual_fmac_f32 v29, v24, v29 :: v_dual_mul_f32 v24, v7, v31
	v_div_scale_f32 v34, s3, v22, v7, v22
	v_fma_f32 v25, -v6, v32, 1.0
	v_mul_f32_e32 v8, 4.0, v13
	s_delay_alu instid0(VALU_DEP_4) | instskip(SKIP_1) | instid1(VALU_DEP_4)
	v_mul_f32_e32 v27, v17, v29
	v_div_scale_f32 v39, null, v24, v24, v3
	v_fmac_f32_e32 v32, v25, v32
	v_div_scale_f32 v25, null, v31, v31, v2
	v_pk_mul_f32 v[8:9], v[12:13], v[8:9]
	v_fma_f32 v12, -v33, v36, 1.0
	s_delay_alu instid0(VALU_DEP_4) | instskip(NEXT) | instid1(VALU_DEP_4)
	v_mul_f32_e32 v26, v35, v32
	v_rcp_f32_e32 v13, v25
	v_fma_f32 v38, -v4, v27, v17
	s_delay_alu instid0(VALU_DEP_2) | instskip(NEXT) | instid1(VALU_DEP_2)
	v_dual_fmac_f32 v36, v12, v36 :: v_dual_fma_f32 v37, -v6, v26, v35
	v_fmac_f32_e32 v27, v38, v29
	s_delay_alu instid0(TRANS32_DEP_1) | instskip(NEXT) | instid1(VALU_DEP_3)
	v_fma_f32 v12, -v25, v13, 1.0
	v_mul_f32_e32 v38, v34, v36
	s_delay_alu instid0(VALU_DEP_4)
	v_fmac_f32_e32 v26, v37, v32
	v_rcp_f32_e32 v37, v39
	v_fma_f32 v4, -v4, v27, v17
	v_fmac_f32_e32 v13, v12, v13
	v_div_scale_f32 v12, s4, v2, v31, v2
	v_fma_f32 v6, -v6, v26, v35
	v_div_scale_f32 v35, null, v7, v7, v8
	s_delay_alu instid0(TRANS32_DEP_1) | instskip(NEXT) | instid1(VALU_DEP_3)
	v_fma_f32 v17, -v39, v37, 1.0
	v_div_fmas_f32 v6, v6, v32, v26
	v_div_scale_f32 v26, null, v7, v7, v9
	s_mov_b32 vcc_lo, s2
	v_fmac_f32_e32 v37, v17, v37
	v_div_fmas_f32 v27, v4, v29, v27
	v_mul_f32_e32 v29, v12, v13
	v_div_scale_f32 v32, s2, v3, v24, v3
	v_fma_f32 v4, -v33, v38, v34
	v_rcp_f32_e32 v17, v26
	v_rcp_f32_e32 v42, v35
	s_delay_alu instid0(VALU_DEP_2) | instskip(SKIP_2) | instid1(TRANS32_DEP_2)
	v_mul_f32_e32 v40, v32, v37
	s_mov_b32 vcc_lo, s3
	v_dual_fmac_f32 v38, v4, v36 :: v_dual_fma_f32 v4, -v25, v29, v12
	v_fma_f32 v41, -v26, v17, 1.0
	s_delay_alu instid0(VALU_DEP_2) | instskip(NEXT) | instid1(VALU_DEP_2)
	v_dual_fma_f32 v33, -v33, v38, v34 :: v_dual_fmac_f32 v29, v4, v13
	v_dual_fma_f32 v4, -v39, v40, v32 :: v_dual_fmac_f32 v17, v41, v17
	v_div_scale_f32 v34, s5, v9, v7, v9
	v_fma_f32 v41, -v35, v42, 1.0
	s_delay_alu instid0(VALU_DEP_4) | instskip(NEXT) | instid1(VALU_DEP_4)
	v_fma_f32 v12, -v25, v29, v12
	v_fmac_f32_e32 v40, v4, v37
	v_div_fmas_f32 v33, v33, v36, v38
	s_mov_b32 vcc_lo, s4
	v_dual_fmac_f32 v42, v41, v42 :: v_dual_mul_f32 v4, v34, v17
	v_div_scale_f32 v25, s3, v8, v7, v8
	v_div_fmas_f32 v12, v12, v13, v29
	v_fma_f32 v13, -v39, v40, v32
	s_mov_b32 vcc_lo, s2
	s_delay_alu instid0(VALU_DEP_3) | instskip(NEXT) | instid1(VALU_DEP_2)
	v_dual_mul_f32 v29, v25, v42 :: v_dual_fma_f32 v32, -v26, v4, v34
	v_div_fmas_f32 v13, v13, v37, v40
	s_mov_b32 vcc_lo, s5
	s_delay_alu instid0(VALU_DEP_2) | instskip(NEXT) | instid1(VALU_DEP_2)
	v_fmac_f32_e32 v4, v32, v17
	v_div_fixup_f32 v13, v13, v24, v3
	v_add_f32_e32 v3, v11, v20
	v_fma_f32 v36, -v35, v29, v25
	v_div_fixup_f32 v11, v12, v31, v2
	s_delay_alu instid0(VALU_DEP_4) | instskip(NEXT) | instid1(VALU_DEP_3)
	v_dual_fma_f32 v2, -v26, v4, v34 :: v_dual_add_f32 v12, v21, v13
	v_fmac_f32_e32 v29, v36, v42
	s_delay_alu instid0(VALU_DEP_2) | instskip(SKIP_1) | instid1(VALU_DEP_2)
	v_div_fmas_f32 v17, v2, v17, v4
	s_mov_b32 vcc_lo, s3
	v_dual_mov_b32 v2, v10 :: v_dual_fma_f32 v13, -v35, v29, v25
	v_div_fixup_f32 v10, v33, v7, v22
	s_delay_alu instid0(VALU_DEP_3) | instskip(NEXT) | instid1(VALU_DEP_3)
	v_div_fixup_f32 v9, v17, v7, v9
	v_div_fmas_f32 v13, v13, v42, v29
	v_cmp_lt_f32_e32 vcc_lo, v15, v16
	v_div_fixup_f32 v29, v6, v31, v30
	s_delay_alu instid0(VALU_DEP_3)
	v_div_fixup_f32 v8, v13, v7, v8
	v_cndmask_b32_e32 v15, v15, v16, vcc_lo
	v_cmp_lt_f32_e32 vcc_lo, v1, v14
	v_add_f32_e32 v4, v11, v12
	v_pk_add_f32 v[2:3], v[2:3], v[28:29]
	v_div_fixup_f32 v11, v27, v7, v23
	v_cndmask_b32_e32 v14, v14, v1, vcc_lo
	s_delay_alu instid0(VALU_DEP_4) | instskip(NEXT) | instid1(VALU_DEP_3)
	v_pk_add_f32 v[4:5], v[4:5], v[8:9]
	v_pk_add_f32 v[10:11], v[10:11], v[2:3]
	s_delay_alu instid0(VALU_DEP_2)
	v_dual_mov_b32 v2, v7 :: v_dual_mov_b32 v17, v5
.LBB9_120:
	s_or_b32 exec_lo, exec_lo, s8
	s_wait_dscnt 0x2
	v_dual_add_nc_u32 v8, 4, v19 :: v_dual_bitop2_b32 v3, 16, v18 bitop3:0x54
	ds_bpermute_b32 v7, v3, v7
	ds_bpermute_b32 v1, v3, v14
	;; [unrolled: 1-line block ×4, first 2 shown]
	s_wait_dscnt 0x4
	ds_bpermute_b32 v6, v3, v10
	ds_bpermute_b32 v13, v3, v11
	;; [unrolled: 1-line block ×3, first 2 shown]
	v_cmp_gt_u32_e32 vcc_lo, s6, v8
	s_and_saveexec_b32 s6, vcc_lo
	s_cbranch_execz .LBB9_122
; %bb.121:
	s_wait_dscnt 0x2
	v_pk_mul_f32 v[16:17], v[10:11], v[6:7]
	s_wait_dscnt 0x0
	v_dual_add_f32 v34, v4, v3 :: v_dual_mul_f32 v8, v2, v13
	v_dual_mov_b32 v21, v7 :: v_dual_mov_b32 v23, v7
	s_delay_alu instid0(VALU_DEP_3) | instskip(SKIP_2) | instid1(VALU_DEP_3)
	v_dual_mov_b32 v4, v17 :: v_dual_add_f32 v17, v2, v7
	v_dual_sub_f32 v16, v2, v7 :: v_dual_mul_f32 v18, v2, v6
	v_dual_mov_b32 v3, v10 :: v_dual_mov_b32 v20, v2
	v_pk_add_f32 v[8:9], v[8:9], v[4:5] neg_lo:[0,1] neg_hi:[0,1]
	v_dual_mul_f32 v4, v7, v7 :: v_dual_mov_b32 v24, v6
	s_delay_alu instid0(VALU_DEP_3) | instskip(NEXT) | instid1(VALU_DEP_3)
	v_pk_fma_f32 v[18:19], v[2:3], v[6:7], v[18:19] op_sel_hi:[1,1,0] neg_lo:[1,0,0] neg_hi:[1,0,0]
	v_dual_mov_b32 v3, 0x40400000 :: v_dual_mul_f32 v22, 4.0, v9
	s_delay_alu instid0(VALU_DEP_3) | instskip(SKIP_2) | instid1(VALU_DEP_4)
	v_pk_mul_f32 v[26:27], v[10:11], v[4:5] op_sel_hi:[1,0]
	v_pk_mul_f32 v[32:33], v[8:9], v[8:9]
	v_dual_mov_b32 v29, v17 :: v_dual_mov_b32 v18, v7
	v_pk_mul_f32 v[22:23], v[8:9], v[22:23]
	v_pk_mul_f32 v[30:31], v[2:3], v[20:21] op_sel_hi:[0,1]
	v_mov_b32_e32 v31, v7
	s_delay_alu instid0(VALU_DEP_3) | instskip(NEXT) | instid1(VALU_DEP_4)
	v_div_scale_f32 v4, null, v17, v17, v23
	v_div_scale_f32 v35, null, v17, v17, v22
	s_delay_alu instid0(VALU_DEP_4) | instskip(NEXT) | instid1(VALU_DEP_3)
	v_mov_b32_e32 v25, v30
	v_rcp_f32_e32 v32, v4
	v_div_scale_f32 v37, s2, v22, v17, v22
	s_delay_alu instid0(VALU_DEP_3) | instskip(NEXT) | instid1(VALU_DEP_2)
	v_rcp_f32_e32 v36, v35
	v_pk_fma_f32 v[20:21], v[2:3], v[20:21], v[24:25] op_sel_hi:[0,1,1] neg_lo:[1,0,0] neg_hi:[1,0,0]
	v_div_scale_f32 v25, vcc_lo, v23, v17, v23
	s_delay_alu instid0(TRANS32_DEP_2) | instskip(SKIP_1) | instid1(TRANS32_DEP_1)
	v_fma_f32 v27, -v4, v32, 1.0
	v_mul_f32_e32 v20, v9, v33
	v_fma_f32 v28, -v35, v36, 1.0
	s_delay_alu instid0(VALU_DEP_3) | instskip(NEXT) | instid1(VALU_DEP_3)
	v_dual_fmac_f32 v32, v27, v32 :: v_dual_mov_b32 v8, v33
	v_mul_f32_e32 v38, v2, v20
	s_delay_alu instid0(VALU_DEP_3) | instskip(SKIP_1) | instid1(VALU_DEP_4)
	v_dual_fmac_f32 v36, v28, v36 :: v_dual_mov_b32 v27, v21
	v_mul_f32_e32 v39, v9, v20
	v_pk_mul_f32 v[8:9], v[2:3], v[8:9]
	s_delay_alu instid0(VALU_DEP_4) | instskip(NEXT) | instid1(VALU_DEP_4)
	v_dual_mul_f32 v28, v38, v7 :: v_dual_mul_f32 v38, v25, v32
	v_pk_fma_f32 v[20:21], v[30:31], v[6:7], v[26:27]
	v_mul_f32_e32 v40, v37, v36
	s_delay_alu instid0(VALU_DEP_4) | instskip(NEXT) | instid1(VALU_DEP_4)
	v_pk_mul_f32 v[8:9], v[8:9], v[18:19]
	v_pk_mul_f32 v[26:27], v[16:17], v[28:29]
	v_fma_f32 v3, -v4, v38, v25
	s_delay_alu instid0(VALU_DEP_4) | instskip(NEXT) | instid1(VALU_DEP_4)
	v_fma_f32 v6, -v35, v40, v37
	v_div_scale_f32 v18, null, v17, v17, v9
	s_delay_alu instid0(VALU_DEP_4) | instskip(NEXT) | instid1(VALU_DEP_4)
	v_div_scale_f32 v16, null, v27, v27, v26
	v_dual_fmac_f32 v38, v3, v32 :: v_dual_mul_f32 v3, v2, v39
	v_mov_b32_e32 v2, v33
	s_delay_alu instid0(VALU_DEP_3) | instskip(NEXT) | instid1(VALU_DEP_2)
	v_rcp_f32_e32 v19, v16
	v_dual_fmac_f32 v40, v6, v36 :: v_dual_fma_f32 v4, -v4, v38, v25
	v_rcp_f32_e32 v29, v18
	s_delay_alu instid0(VALU_DEP_1) | instskip(NEXT) | instid1(TRANS32_DEP_2)
	v_fma_f32 v25, -v35, v40, v37
	v_fma_f32 v28, -v16, v19, 1.0
	v_mov_b32_e32 v6, 0x40c00000
	v_div_fmas_f32 v4, v4, v32, v38
	s_mov_b32 vcc_lo, s2
	v_div_scale_f32 v32, s2, v9, v17, v9
	v_fmac_f32_e32 v19, v28, v19
	v_pk_mul_f32 v[2:3], v[2:3], v[6:7]
	v_div_fmas_f32 v30, v25, v36, v40
	v_div_scale_f32 v6, vcc_lo, v26, v27, v26
	v_fma_f32 v7, -v18, v29, 1.0
	s_delay_alu instid0(VALU_DEP_4) | instskip(SKIP_1) | instid1(VALU_DEP_3)
	v_pk_mul_f32 v[2:3], v[2:3], v[20:21]
	v_div_scale_f32 v20, null, v17, v17, v8
	v_dual_mul_f32 v25, v17, v27 :: v_dual_fmac_f32 v29, v7, v29
	s_delay_alu instid0(VALU_DEP_3) | instskip(NEXT) | instid1(VALU_DEP_3)
	v_div_scale_f32 v21, null, v27, v27, v2
	v_rcp_f32_e32 v31, v20
	s_delay_alu instid0(VALU_DEP_2) | instskip(NEXT) | instid1(VALU_DEP_2)
	v_dual_mul_f32 v28, v6, v19 :: v_dual_mul_f32 v37, v32, v29
	v_rcp_f32_e32 v7, v21
	v_div_scale_f32 v33, null, v25, v25, v3
	s_delay_alu instid0(TRANS32_DEP_2) | instskip(NEXT) | instid1(VALU_DEP_3)
	v_fma_f32 v35, -v20, v31, 1.0
	v_fma_f32 v36, -v16, v28, v6
	s_delay_alu instid0(VALU_DEP_3) | instskip(NEXT) | instid1(TRANS32_DEP_2)
	v_rcp_f32_e32 v39, v33
	v_fma_f32 v38, -v21, v7, 1.0
	s_delay_alu instid0(VALU_DEP_3) | instskip(SKIP_3) | instid1(TRANS32_DEP_1)
	v_fmac_f32_e32 v31, v35, v31
	v_div_scale_f32 v35, s3, v8, v17, v8
	v_fmac_f32_e32 v28, v36, v19
	v_fma_f32 v36, -v18, v37, v32
	v_fma_f32 v40, -v33, v39, 1.0
	s_delay_alu instid0(VALU_DEP_2) | instskip(NEXT) | instid1(VALU_DEP_4)
	v_dual_mul_f32 v41, v35, v31 :: v_dual_fmac_f32 v37, v36, v29
	v_dual_fmac_f32 v7, v38, v7 :: v_dual_fma_f32 v6, -v16, v28, v6
	v_div_scale_f32 v38, s4, v2, v27, v2
	s_delay_alu instid0(VALU_DEP_3) | instskip(NEXT) | instid1(VALU_DEP_3)
	v_fma_f32 v16, -v20, v41, v35
	v_div_fmas_f32 v19, v6, v19, v28
	s_delay_alu instid0(VALU_DEP_3) | instskip(SKIP_2) | instid1(VALU_DEP_3)
	v_mul_f32_e32 v42, v38, v7
	v_fmac_f32_e32 v39, v40, v39
	v_div_scale_f32 v40, s5, v3, v25, v3
	v_dual_fma_f32 v6, -v18, v37, v32 :: v_dual_fma_f32 v36, -v21, v42, v38
	s_mov_b32 vcc_lo, s2
	s_delay_alu instid0(VALU_DEP_2) | instskip(NEXT) | instid1(VALU_DEP_2)
	v_mul_f32_e32 v43, v40, v39
	v_div_fmas_f32 v18, v6, v29, v37
	s_delay_alu instid0(VALU_DEP_3) | instskip(SKIP_1) | instid1(VALU_DEP_4)
	v_fmac_f32_e32 v42, v36, v7
	v_fmac_f32_e32 v41, v16, v31
	v_fma_f32 v16, -v33, v43, v40
	s_mov_b32 vcc_lo, s3
	v_div_fixup_f32 v9, v18, v17, v9
	s_delay_alu instid0(VALU_DEP_2) | instskip(SKIP_1) | instid1(VALU_DEP_1)
	v_dual_fmac_f32 v43, v16, v39 :: v_dual_fma_f32 v16, -v21, v42, v38
	v_fma_f32 v6, -v20, v41, v35
	v_div_fmas_f32 v20, v6, v31, v41
	s_delay_alu instid0(VALU_DEP_3)
	v_fma_f32 v6, -v33, v43, v40
	s_mov_b32 vcc_lo, s4
	v_div_fmas_f32 v16, v16, v7, v42
	s_mov_b32 vcc_lo, s5
	v_add_f32_e32 v7, v11, v13
	v_div_fmas_f32 v6, v6, v39, v43
	v_cmp_lt_f32_e32 vcc_lo, v15, v12
	v_div_fixup_f32 v8, v20, v17, v8
	s_delay_alu instid0(VALU_DEP_3)
	v_div_fixup_f32 v11, v6, v25, v3
	v_mov_b32_e32 v6, v10
	v_div_fixup_f32 v25, v19, v27, v26
	v_div_fixup_f32 v3, v4, v17, v23
	;; [unrolled: 1-line block ×3, first 2 shown]
	v_dual_add_f32 v10, v34, v11 :: v_dual_cndmask_b32 v15, v15, v12
	v_div_fixup_f32 v2, v30, v17, v22
	v_pk_add_f32 v[6:7], v[6:7], v[24:25]
	v_cmp_lt_f32_e32 vcc_lo, v1, v14
	s_delay_alu instid0(VALU_DEP_4) | instskip(NEXT) | instid1(VALU_DEP_3)
	v_add_f32_e32 v4, v4, v10
	v_pk_add_f32 v[10:11], v[8:9], v[6:7]
	v_cndmask_b32_e32 v14, v14, v1, vcc_lo
	s_delay_alu instid0(VALU_DEP_3)
	v_pk_add_f32 v[4:5], v[4:5], v[2:3]
	v_mov_b32_e32 v2, v17
.LBB9_122:
	s_or_b32 exec_lo, exec_lo, s6
.LBB9_123:
	s_delay_alu instid0(SALU_CYCLE_1)
	s_or_b32 exec_lo, exec_lo, s7
.LBB9_124:
	s_delay_alu instid0(SALU_CYCLE_1)
	s_mov_b32 s7, exec_lo
                                        ; implicit-def: $vgpr9
                                        ; implicit-def: $vgpr13
                                        ; implicit-def: $vgpr16_vgpr17
	v_cmpx_eq_u32_e32 0, v0
	s_cbranch_execz .LBB9_128
; %bb.125:
	v_mov_b64_e32 v[16:17], s[20:21]
	s_wait_dscnt 0x3
	v_dual_mov_b32 v9, s15 :: v_dual_mov_b32 v8, s14
	s_wait_dscnt 0x0
	v_dual_mov_b32 v7, s13 :: v_dual_mov_b32 v13, s12
	v_mov_b32_e32 v18, s22
	s_cmp_eq_u64 s[18:19], 0
	s_cbranch_scc1 .LBB9_127
; %bb.126:
	v_mov_b64_e32 v[0:1], s[14:15]
	v_mov_b64_e32 v[8:9], s[20:21]
	v_dual_mov_b32 v6, s12 :: v_dual_mov_b32 v7, s20
	v_dual_mov_b32 v12, v10 :: v_dual_mov_b32 v13, v2
	v_mul_f32_e32 v16, s12, v10
	v_pk_add_f32 v[0:1], v[4:5], v[0:1] neg_lo:[0,1] neg_hi:[0,1]
	v_pk_add_f32 v[18:19], v[8:9], v[10:11]
	v_mov_b32_e32 v18, s20
	v_mov_b64_e32 v[20:21], s[12:13]
	v_pk_fma_f32 v[12:13], v[6:7], v[12:13], v[16:17] op_sel_hi:[1,1,0] neg_lo:[1,0,0] neg_hi:[1,0,0]
	v_pk_mul_f32 v[16:17], v[0:1], v[0:1]
	v_dual_mov_b32 v7, v2 :: v_dual_mul_f32 v26, v2, v2
	v_mov_b32_e32 v27, s12
	v_cmp_gt_f32_e32 vcc_lo, s13, v14
	s_delay_alu instid0(VALU_DEP_4) | instskip(NEXT) | instid1(VALU_DEP_4)
	v_mov_b32_e32 v0, v17
	v_pk_mul_f32 v[22:23], s[12:13], v[6:7] op_sel_hi:[0,1]
	v_dual_mul_f32 v5, v1, v17 :: v_dual_mul_f32 v16, v1, v2
	v_add_f32_e32 v33, s22, v4
	s_delay_alu instid0(VALU_DEP_4) | instskip(NEXT) | instid1(VALU_DEP_3)
	v_pk_mul_f32 v[24:25], v[20:21], v[0:1]
	v_dual_mov_b32 v12, v23 :: v_dual_mul_f32 v23, s12, v5
	v_mul_f32_e32 v0, v1, v5
	v_mov_b32_e32 v25, v13
	s_delay_alu instid0(VALU_DEP_3) | instskip(NEXT) | instid1(VALU_DEP_4)
	v_pk_fma_f32 v[28:29], s[12:13], v[6:7], v[12:13] op_sel_hi:[0,1,1] neg_lo:[0,0,1] neg_hi:[0,0,1]
	v_dual_mov_b32 v29, v2 :: v_dual_mul_f32 v5, v2, v23
	s_delay_alu instid0(VALU_DEP_4) | instskip(SKIP_1) | instid1(VALU_DEP_3)
	v_pk_mul_f32 v[20:21], v[20:21], v[0:1] op_sel_hi:[1,0]
	v_mov_b32_e32 v23, s12
	v_pk_add_f32 v[12:13], v[26:27], v[28:29]
	v_dual_sub_f32 v7, s12, v2 :: v_dual_mov_b32 v27, v2
	s_delay_alu instid0(VALU_DEP_2) | instskip(NEXT) | instid1(VALU_DEP_1)
	v_div_scale_f32 v28, null, v13, v13, v16
	v_rcp_f32_e32 v30, v28
	v_nop
	s_delay_alu instid0(TRANS32_DEP_1) | instskip(NEXT) | instid1(VALU_DEP_1)
	v_fma_f32 v0, -v28, v30, 1.0
	v_dual_mul_f32 v3, 0x40400000, v1 :: v_dual_fmac_f32 v30, v0, v30
	s_delay_alu instid0(VALU_DEP_1) | instskip(SKIP_4) | instid1(VALU_DEP_4)
	v_pk_mul_f32 v[24:25], v[2:3], v[24:25]
	v_dual_mov_b32 v3, v13 :: v_dual_mov_b32 v21, v13
	v_dual_mul_f32 v29, v7, v5 :: v_dual_cndmask_b32 v7, s13, v14, vcc_lo
	v_mov_b32_e32 v0, v17
	v_div_scale_f32 v14, vcc_lo, v16, v13, v16
	v_pk_mul_f32 v[20:21], v[2:3], v[20:21]
	v_div_scale_f32 v34, null, v13, v13, v25
	v_mov_b64_e32 v[4:5], 0x4080000040c00000
	v_div_scale_f32 v36, null, v13, v13, v24
	s_delay_alu instid0(VALU_DEP_4) | instskip(SKIP_2) | instid1(VALU_DEP_2)
	v_div_scale_f32 v31, null, v21, v21, v29
	v_div_scale_f32 v35, s2, v29, v21, v29
	v_rcp_f32_e32 v37, v34
	v_rcp_f32_e32 v32, v31
	;; [unrolled: 1-line block ×3, first 2 shown]
	v_pk_mul_f32 v[0:1], v[0:1], v[4:5]
	s_delay_alu instid0(TRANS32_DEP_2) | instskip(NEXT) | instid1(VALU_DEP_1)
	v_fma_f32 v2, -v31, v32, 1.0
	v_fmac_f32_e32 v32, v2, v32
	s_delay_alu instid0(VALU_DEP_1) | instskip(NEXT) | instid1(VALU_DEP_1)
	v_dual_mul_f32 v17, v14, v30 :: v_dual_mul_f32 v38, v35, v32
	v_fma_f32 v3, -v28, v17, v14
	s_delay_alu instid0(VALU_DEP_1) | instskip(SKIP_1) | instid1(VALU_DEP_4)
	v_fmac_f32_e32 v17, v3, v30
	v_pk_mul_f32 v[2:3], v[8:9], v[26:27]
	v_fma_f32 v9, -v31, v38, v35
	v_div_scale_f32 v26, s3, v25, v13, v25
	s_delay_alu instid0(VALU_DEP_4) | instskip(SKIP_1) | instid1(VALU_DEP_4)
	v_fma_f32 v8, -v28, v17, v14
	v_fma_f32 v14, -v34, v37, 1.0
	v_fmac_f32_e32 v38, v9, v32
	s_delay_alu instid0(VALU_DEP_3) | instskip(NEXT) | instid1(VALU_DEP_3)
	v_div_fmas_f32 v8, v8, v30, v17
	v_fmac_f32_e32 v37, v14, v37
	s_mov_b32 vcc_lo, s2
	s_delay_alu instid0(VALU_DEP_2)
	v_div_fixup_f32 v14, v8, v13, v16
	v_pk_fma_f32 v[8:9], v[22:23], v[10:11], v[2:3] neg_lo:[0,0,1] neg_hi:[0,0,1]
	v_pk_fma_f32 v[2:3], v[22:23], v[10:11], v[2:3]
	v_fma_f32 v27, -v31, v38, v35
	v_pk_mul_f32 v[16:17], v[12:13], v[20:21]
	v_fma_f32 v8, -v36, v6, 1.0
	v_dual_mov_b32 v3, v9 :: v_dual_mul_f32 v4, v26, v37
	s_delay_alu instid0(VALU_DEP_4) | instskip(NEXT) | instid1(VALU_DEP_4)
	v_div_fmas_f32 v9, v27, v32, v38
	v_div_scale_f32 v5, null, v17, v17, v16
	s_delay_alu instid0(VALU_DEP_3) | instskip(SKIP_2) | instid1(VALU_DEP_4)
	v_pk_mul_f32 v[0:1], v[0:1], v[2:3]
	v_fmac_f32_e32 v6, v8, v6
	v_div_scale_f32 v2, s4, v24, v13, v24
	v_rcp_f32_e32 v3, v5
	s_delay_alu instid0(VALU_DEP_3) | instskip(SKIP_3) | instid1(TRANS32_DEP_2)
	v_div_scale_f32 v8, null, v21, v21, v0
	v_div_scale_f32 v23, null, v13, v13, v1
	s_mov_b32 vcc_lo, s3
	v_rcp_f32_e32 v20, v8
	v_fma_f32 v12, -v5, v3, 1.0
	v_rcp_f32_e32 v28, v23
	s_delay_alu instid0(VALU_DEP_1) | instskip(NEXT) | instid1(VALU_DEP_1)
	v_dual_fma_f32 v11, -v34, v4, v26 :: v_dual_fmac_f32 v3, v12, v3
	v_dual_mul_f32 v22, v2, v6 :: v_dual_fmac_f32 v4, v11, v37
	v_div_scale_f32 v12, s2, v16, v17, v16
	s_delay_alu instid0(TRANS32_DEP_2) | instskip(NEXT) | instid1(VALU_DEP_3)
	v_fma_f32 v27, -v8, v20, 1.0
	v_fma_f32 v11, -v36, v22, v2
	s_delay_alu instid0(TRANS32_DEP_1) | instskip(NEXT) | instid1(VALU_DEP_4)
	v_fma_f32 v31, -v23, v28, 1.0
	v_dual_mul_f32 v30, v12, v3 :: v_dual_fma_f32 v26, -v34, v4, v26
	s_delay_alu instid0(VALU_DEP_4) | instskip(SKIP_1) | instid1(VALU_DEP_4)
	v_fmac_f32_e32 v20, v27, v20
	v_div_scale_f32 v27, s5, v0, v21, v0
	v_fmac_f32_e32 v28, v31, v28
	v_div_scale_f32 v31, s6, v1, v13, v1
	s_delay_alu instid0(VALU_DEP_3)
	v_mul_f32_e32 v32, v27, v20
	v_fmac_f32_e32 v22, v11, v6
	v_fma_f32 v11, -v5, v30, v12
	v_div_fmas_f32 v4, v26, v37, v4
	v_mul_f32_e32 v26, v31, v28
	s_mov_b32 vcc_lo, s4
	s_delay_alu instid0(VALU_DEP_3) | instskip(NEXT) | instid1(VALU_DEP_1)
	v_dual_fmac_f32 v30, v11, v3 :: v_dual_fma_f32 v11, -v8, v32, v27
	v_dual_fma_f32 v2, -v36, v22, v2 :: v_dual_fmac_f32 v32, v11, v20
	s_delay_alu instid0(VALU_DEP_1) | instskip(NEXT) | instid1(VALU_DEP_3)
	v_div_fmas_f32 v6, v2, v6, v22
	v_fma_f32 v2, -v5, v30, v12
	v_fma_f32 v5, -v23, v26, v31
	s_mov_b32 vcc_lo, s2
	s_delay_alu instid0(VALU_DEP_2) | instskip(NEXT) | instid1(VALU_DEP_2)
	v_div_fmas_f32 v11, v2, v3, v30
	v_dual_mov_b32 v2, v10 :: v_dual_fmac_f32 v26, v5, v28
	v_fma_f32 v5, -v8, v32, v27
	s_mov_b32 vcc_lo, s5
	v_div_fixup_f32 v3, v9, v21, v29
	v_div_fixup_f32 v8, v11, v17, v16
	v_fma_f32 v9, -v23, v26, v31
	v_div_fmas_f32 v5, v5, v20, v32
	s_mov_b32 vcc_lo, s6
	v_pk_add_f32 v[2:3], v[18:19], v[2:3]
	v_add_f32_e32 v8, v33, v8
	v_div_fmas_f32 v9, v9, v28, v26
	v_div_fixup_f32 v0, v5, v21, v0
	v_div_fixup_f32 v5, v4, v13, v25
	v_div_fixup_f32 v4, v6, v13, v24
	v_cmp_lt_f32_e32 vcc_lo, s14, v15
	v_div_fixup_f32 v1, v9, v13, v1
	v_dual_add_f32 v9, s15, v14 :: v_dual_add_f32 v0, v0, v8
	s_delay_alu instid0(VALU_DEP_4) | instskip(NEXT) | instid1(VALU_DEP_2)
	v_pk_add_f32 v[16:17], v[2:3], v[4:5]
	v_dual_cndmask_b32 v8, s14, v15, vcc_lo :: v_dual_add_f32 v18, v1, v0
.LBB9_127:
	s_or_b32 s23, s23, exec_lo
.LBB9_128:
	s_or_b32 exec_lo, exec_lo, s7
	s_and_saveexec_b32 s2, s23
	s_cbranch_execz .LBB9_99
.LBB9_129:
	s_load_b64 s[0:1], s[0:1], 0x18
	s_wait_dscnt 0x1
	v_dual_mov_b32 v0, 0 :: v_dual_mov_b32 v6, v13
	s_mul_u64 s[2:3], s[10:11], 28
	s_wait_kmcnt 0x0
	s_add_nc_u64 s[0:1], s[0:1], s[2:3]
	s_wait_dscnt 0x0
	s_clause 0x1
	global_store_b128 v0, v[6:9], s[0:1]
	global_store_b96 v0, v[16:18], s[0:1] offset:16
	s_endpgm
.LBB9_130:
	s_clause 0x1
	global_load_b128 v[2:5], v[32:33], off offset:21504
	global_load_b96 v[16:18], v[32:33], off offset:21520
	s_wait_xcnt 0x0
	s_or_b32 exec_lo, exec_lo, s4
	s_and_saveexec_b32 s23, vcc_lo
	s_cbranch_execz .LBB9_29
.LBB9_131:
	s_wait_loadcnt 0x1
	v_dual_mov_b32 v32, v31 :: v_dual_mov_b32 v33, v10
	v_dual_sub_f32 v36, v13, v30 :: v_dual_mov_b32 v40, v15
	v_cmp_lt_f32_e32 vcc_lo, v11, v28
	v_mov_b32_e32 v41, v14
	s_delay_alu instid0(VALU_DEP_4) | instskip(NEXT) | instid1(VALU_DEP_4)
	v_pk_mul_f32 v[38:39], v[30:31], v[32:33] op_sel:[1,0]
	v_dual_mul_f32 v37, v36, v36 :: v_dual_mul_f32 v44, v10, v10
	v_dual_mov_b32 v45, v31 :: v_dual_cndmask_b32 v28, v28, v11
	s_delay_alu instid0(VALU_DEP_2) | instskip(SKIP_2) | instid1(VALU_DEP_3)
	v_dual_mov_b32 v42, v39 :: v_dual_mul_f32 v1, v36, v37
	v_dual_mov_b32 v46, v31 :: v_dual_mul_f32 v19, v36, v10
	v_sub_f32_e32 v13, v31, v10
	v_pk_fma_f32 v[32:33], v[30:31], v[32:33], v[42:43] op_sel:[1,0,0] neg_lo:[0,0,1] neg_hi:[0,0,1]
	s_delay_alu instid0(VALU_DEP_4) | instskip(SKIP_3) | instid1(VALU_DEP_3)
	v_dual_mov_b32 v33, v10 :: v_dual_mul_f32 v11, v31, v1
	s_wait_loadcnt 0x0
	v_dual_mul_f32 v1, v36, v1 :: v_dual_mov_b32 v42, v25
	v_dual_mov_b32 v50, v24 :: v_dual_mov_b32 v51, v10
	v_pk_add_f32 v[32:33], v[44:45], v[32:33]
	s_delay_alu instid0(VALU_DEP_3) | instskip(SKIP_1) | instid1(VALU_DEP_3)
	v_dual_mul_f32 v15, v10, v11 :: v_dual_mul_f32 v48, v31, v1
	v_dual_mov_b32 v47, v14 :: v_dual_mov_b32 v53, v10
	v_dual_mov_b32 v11, v33 :: v_dual_mov_b32 v49, v33
	v_div_scale_f32 v1, null, v33, v33, v19
	s_delay_alu instid0(VALU_DEP_4) | instskip(NEXT) | instid1(VALU_DEP_3)
	v_mul_f32_e32 v13, v13, v15
	v_pk_mul_f32 v[48:49], v[10:11], v[48:49]
	s_delay_alu instid0(VALU_DEP_3) | instskip(SKIP_1) | instid1(VALU_DEP_2)
	v_rcp_f32_e32 v15, v1
	v_dual_mul_f32 v11, v31, v37 :: v_dual_mul_f32 v54, v14, v10
	v_div_scale_f32 v23, null, v49, v49, v13
	v_div_scale_f32 v43, s4, v13, v49, v13
	s_delay_alu instid0(TRANS32_DEP_1) | instskip(NEXT) | instid1(VALU_DEP_3)
	v_fma_f32 v27, -v1, v15, 1.0
	v_rcp_f32_e32 v39, v23
	v_pk_fma_f32 v[46:47], v[46:47], v[50:51], v[54:55] op_sel_hi:[1,1,0] neg_lo:[0,0,1] neg_hi:[0,0,1]
	v_dual_mul_f32 v52, 0x40400000, v36 :: v_dual_mov_b32 v47, v11
	v_div_scale_f32 v11, vcc_lo, v19, v33, v19
	v_fmac_f32_e32 v15, v27, v15
	s_delay_alu instid0(TRANS32_DEP_1)
	v_fma_f32 v27, -v23, v39, 1.0
	v_add_f32_e32 v51, v34, v26
	v_pk_mul_f32 v[46:47], v[52:53], v[46:47]
	v_pk_add_f32 v[34:35], v[40:41], v[42:43]
	v_mul_f32_e32 v45, v11, v15
	v_dual_fmac_f32 v39, v27, v39 :: v_dual_mov_b32 v35, v14
	v_mov_b32_e32 v26, v31
	v_div_scale_f32 v50, null, v33, v33, v47
	s_delay_alu instid0(VALU_DEP_4) | instskip(SKIP_1) | instid1(VALU_DEP_3)
	v_fma_f32 v27, -v1, v45, v11
	v_div_scale_f32 v53, null, v33, v33, v46
	v_rcp_f32_e32 v52, v50
	s_delay_alu instid0(VALU_DEP_2) | instskip(NEXT) | instid1(VALU_DEP_1)
	v_dual_fmac_f32 v45, v27, v15 :: v_dual_mov_b32 v27, v38
	v_dual_mul_f32 v31, v43, v39 :: v_dual_fma_f32 v1, -v1, v45, v11
	s_delay_alu instid0(VALU_DEP_1) | instskip(NEXT) | instid1(TRANS32_DEP_1)
	v_dual_mov_b32 v11, v44 :: v_dual_fma_f32 v14, -v23, v31, v43
	v_fma_f32 v42, -v50, v52, 1.0
	s_delay_alu instid0(VALU_DEP_3) | instskip(NEXT) | instid1(VALU_DEP_3)
	v_div_fmas_f32 v1, v1, v15, v45
	v_dual_mov_b32 v15, v24 :: v_dual_fmac_f32 v31, v14, v39
	v_mov_b32_e32 v14, v25
	v_pk_mul_f32 v[10:11], v[40:41], v[10:11]
	s_mov_b32 vcc_lo, s4
	v_rcp_f32_e32 v25, v53
	v_fma_f32 v23, -v23, v31, v43
	v_div_fixup_f32 v1, v1, v33, v19
	v_pk_fma_f32 v[40:41], v[26:27], v[14:15], v[10:11]
	v_fmac_f32_e32 v52, v42, v52
	v_pk_mul_f32 v[42:43], v[32:33], v[48:49]
	v_div_fmas_f32 v23, v23, v39, v31
	v_mov_b64_e32 v[38:39], 0x40c0000040800000
	v_pk_fma_f32 v[10:11], v[26:27], v[14:15], v[10:11] neg_lo:[0,0,1] neg_hi:[0,0,1]
	v_mov_b32_e32 v11, v41
	v_div_scale_f32 v26, null, v43, v43, v42
	v_div_fixup_f32 v14, v23, v49, v13
	v_div_scale_f32 v31, vcc_lo, v47, v33, v47
	v_pk_mul_f32 v[36:37], v[36:37], v[38:39]
	s_delay_alu instid0(VALU_DEP_4) | instskip(SKIP_1) | instid1(VALU_DEP_3)
	v_rcp_f32_e32 v23, v26
	v_fma_f32 v15, -v53, v25, 1.0
	v_mul_f32_e32 v13, v31, v52
	v_div_scale_f32 v32, s4, v46, v33, v46
	v_pk_mul_f32 v[10:11], v[36:37], v[10:11]
	s_delay_alu instid0(TRANS32_DEP_1) | instskip(SKIP_1) | instid1(VALU_DEP_3)
	v_fma_f32 v36, -v26, v23, 1.0
	v_dual_fmac_f32 v25, v15, v25 :: v_dual_mov_b32 v15, v24
	v_div_scale_f32 v27, null, v49, v49, v11
	s_delay_alu instid0(VALU_DEP_3) | instskip(SKIP_1) | instid1(VALU_DEP_3)
	v_fmac_f32_e32 v23, v36, v23
	v_div_scale_f32 v36, s5, v42, v43, v42
	v_rcp_f32_e32 v37, v27
	v_fma_f32 v24, -v50, v13, v31
	v_div_scale_f32 v39, null, v33, v33, v10
	s_delay_alu instid0(VALU_DEP_3) | instskip(SKIP_1) | instid1(VALU_DEP_4)
	v_mul_f32_e32 v44, v36, v23
	v_mul_f32_e32 v38, v32, v25
	v_fmac_f32_e32 v13, v24, v52
	s_delay_alu instid0(TRANS32_DEP_1) | instskip(SKIP_3) | instid1(VALU_DEP_1)
	v_fma_f32 v40, -v27, v37, 1.0
	v_rcp_f32_e32 v41, v39
	v_pk_add_f32 v[14:15], v[34:35], v[14:15]
	v_fma_f32 v24, -v53, v38, v32
	v_fmac_f32_e32 v38, v24, v25
	v_fmac_f32_e32 v37, v40, v37
	v_div_scale_f32 v40, s6, v11, v49, v11
	v_fma_f32 v24, -v26, v44, v36
	v_fma_f32 v31, -v50, v13, v31
	v_fma_f32 v45, -v39, v41, 1.0
	s_delay_alu instid0(VALU_DEP_3) | instskip(NEXT) | instid1(VALU_DEP_3)
	v_fmac_f32_e32 v44, v24, v23
	v_div_fmas_f32 v13, v31, v52, v13
	v_dual_fma_f32 v31, -v53, v38, v32 :: v_dual_mul_f32 v48, v40, v37
	s_mov_b32 vcc_lo, s4
	s_delay_alu instid0(VALU_DEP_1) | instskip(NEXT) | instid1(VALU_DEP_2)
	v_fma_f32 v24, -v27, v48, v40
	v_div_fmas_f32 v31, v31, v25, v38
	v_fma_f32 v25, -v26, v44, v36
	s_mov_b32 vcc_lo, s5
	s_delay_alu instid0(VALU_DEP_3)
	v_fmac_f32_e32 v48, v24, v37
	v_fmac_f32_e32 v41, v45, v41
	v_div_scale_f32 v45, s7, v10, v33, v10
	v_div_fmas_f32 v23, v25, v23, v44
	v_div_fixup_f32 v25, v13, v33, v47
	v_fma_f32 v13, -v27, v48, v40
	s_mov_b32 vcc_lo, s6
	s_delay_alu instid0(VALU_DEP_3) | instskip(SKIP_1) | instid1(VALU_DEP_3)
	v_div_fixup_f32 v23, v23, v43, v42
	v_mul_f32_e32 v32, v45, v41
	v_div_fmas_f32 v13, v13, v37, v48
	s_mov_b32 vcc_lo, s7
	s_delay_alu instid0(VALU_DEP_3) | instskip(NEXT) | instid1(VALU_DEP_3)
	v_add_f32_e32 v23, v51, v23
	v_fma_f32 v26, -v39, v32, v45
	s_delay_alu instid0(VALU_DEP_3) | instskip(NEXT) | instid1(VALU_DEP_1)
	v_div_fixup_f32 v11, v13, v49, v11
	v_dual_fmac_f32 v32, v26, v41 :: v_dual_add_f32 v19, v11, v23
	s_delay_alu instid0(VALU_DEP_1) | instskip(NEXT) | instid1(VALU_DEP_1)
	v_fma_f32 v24, -v39, v32, v45
	v_div_fmas_f32 v26, v24, v41, v32
	v_div_fixup_f32 v24, v31, v33, v46
	v_cmp_lt_f32_e32 vcc_lo, v29, v12
	s_delay_alu instid0(VALU_DEP_3) | instskip(NEXT) | instid1(VALU_DEP_3)
	v_div_fixup_f32 v13, v26, v33, v10
	v_pk_add_f32 v[10:11], v[24:25], v[14:15]
	v_dual_cndmask_b32 v29, v29, v12 :: v_dual_add_f32 v30, v30, v1
	v_mov_b32_e32 v31, v33
	s_delay_alu instid0(VALU_DEP_3) | instskip(NEXT) | instid1(VALU_DEP_4)
	v_dual_add_f32 v34, v13, v19 :: v_dual_mov_b32 v15, v10
	v_mov_b32_e32 v14, v11
	s_or_b32 exec_lo, exec_lo, s23
	s_and_saveexec_b32 s7, s3
	s_cbranch_execz .LBB9_30
.LBB9_132:
	s_wait_loadcnt 0x1
	v_dual_mov_b32 v10, v31 :: v_dual_mov_b32 v11, v6
	v_dual_sub_f32 v36, v9, v30 :: v_dual_mov_b32 v33, v6
	v_cmp_lt_f32_e32 vcc_lo, v7, v28
	v_mov_b32_e32 v40, 0x40400000
	s_wait_loadcnt 0x0
	v_pk_mul_f32 v[24:25], v[10:11], v[30:31] op_sel:[0,1]
	v_mul_f32_e32 v1, v36, v36
	v_dual_mul_f32 v12, v20, v31 :: v_dual_mul_f32 v32, v6, v6
	s_delay_alu instid0(VALU_DEP_3) | instskip(SKIP_3) | instid1(VALU_DEP_4)
	v_dual_mov_b32 v41, v6 :: v_dual_mov_b32 v38, v25
	v_dual_cndmask_b32 v28, v28, v7, vcc_lo :: v_dual_mul_f32 v26, v6, v14
	v_dual_mov_b32 v13, v31 :: v_dual_mov_b32 v27, v6
	v_mul_f32_e32 v7, v36, v1
	v_pk_fma_f32 v[10:11], v[10:11], v[30:31], v[38:39] op_sel:[0,1,0] neg_lo:[0,0,1] neg_hi:[0,0,1]
	v_dual_mov_b32 v11, v31 :: v_dual_mul_f32 v9, v1, v31
	s_delay_alu instid0(VALU_DEP_3) | instskip(SKIP_1) | instid1(VALU_DEP_3)
	v_dual_mul_f32 v19, v6, v36 :: v_dual_mul_f32 v37, v31, v7
	v_pk_add_f32 v[12:13], v[12:13], v[26:27] neg_lo:[0,1] neg_hi:[0,1]
	v_pk_add_f32 v[10:11], v[32:33], v[10:11]
	s_delay_alu instid0(VALU_DEP_4) | instskip(NEXT) | instid1(VALU_DEP_4)
	v_dual_mul_f32 v9, v6, v9 :: v_dual_mul_f32 v7, v36, v7
	v_pk_mul_f32 v[26:27], v[40:41], v[36:37]
	v_add_f32_e32 v44, v22, v34
	s_delay_alu instid0(VALU_DEP_4) | instskip(NEXT) | instid1(VALU_DEP_4)
	v_div_scale_f32 v23, null, v11, v11, v19
	v_div_scale_f32 v33, null, v11, v11, v9
	v_mov_b32_e32 v39, v11
	s_delay_alu instid0(VALU_DEP_3) | instskip(SKIP_1) | instid1(VALU_DEP_3)
	v_rcp_f32_e32 v25, v23
	v_pk_mul_f32 v[12:13], v[26:27], v[12:13]
	v_rcp_f32_e32 v40, v33
	s_delay_alu instid0(VALU_DEP_1) | instskip(NEXT) | instid1(TRANS32_DEP_2)
	v_div_scale_f32 v45, null, v11, v11, v12
	v_fma_f32 v35, -v23, v25, 1.0
	s_delay_alu instid0(TRANS32_DEP_1) | instskip(SKIP_3) | instid1(VALU_DEP_3)
	v_fma_f32 v37, -v33, v40, 1.0
	v_mul_f32_e32 v38, v31, v7
	v_mov_b32_e32 v7, v11
	v_rcp_f32_e32 v47, v45
	v_dual_fmac_f32 v40, v37, v40 :: v_dual_fmac_f32 v25, v35, v25
	s_delay_alu instid0(VALU_DEP_2) | instskip(SKIP_2) | instid1(VALU_DEP_3)
	v_pk_mul_f32 v[26:27], v[6:7], v[38:39]
	v_div_scale_f32 v7, vcc_lo, v19, v11, v19
	v_div_scale_f32 v35, s3, v9, v11, v9
	v_div_scale_f32 v41, null, v27, v27, v13
	v_mov_b32_e32 v38, v15
	s_delay_alu instid0(VALU_DEP_3) | instskip(SKIP_1) | instid1(VALU_DEP_4)
	v_mul_f32_e32 v43, v35, v40
	v_dual_mul_f32 v37, v7, v25 :: v_dual_mov_b32 v39, v14
	v_rcp_f32_e32 v42, v41
	v_div_scale_f32 v46, s4, v13, v27, v13
	s_delay_alu instid0(VALU_DEP_2) | instskip(SKIP_1) | instid1(TRANS32_DEP_1)
	v_fma_f32 v15, -v23, v37, v7
	v_fma_f32 v22, -v33, v43, v35
	v_fma_f32 v14, -v41, v42, 1.0
	s_delay_alu instid0(VALU_DEP_2) | instskip(SKIP_1) | instid1(VALU_DEP_2)
	v_dual_fmac_f32 v37, v15, v25 :: v_dual_fmac_f32 v43, v22, v40
	v_dual_mov_b32 v15, v20 :: v_dual_mov_b32 v22, v31
	v_dual_fmac_f32 v42, v14, v42 :: v_dual_fma_f32 v14, -v23, v37, v7
	v_dual_mov_b32 v7, v32 :: v_dual_mov_b32 v23, v24
	s_delay_alu instid0(VALU_DEP_4) | instskip(SKIP_1) | instid1(VALU_DEP_4)
	v_fma_f32 v31, -v33, v43, v35
	v_pk_mul_f32 v[34:35], v[10:11], v[26:27]
	v_div_fmas_f32 v48, v14, v25, v37
	v_mov_b32_e32 v14, v21
	v_pk_mul_f32 v[6:7], v[6:7], v[38:39]
	v_mov_b64_e32 v[24:25], 0x40c0000040800000
	s_mov_b32 vcc_lo, s3
	v_div_fixup_f32 v19, v48, v11, v19
	s_delay_alu instid0(VALU_DEP_3) | instskip(SKIP_3) | instid1(VALU_DEP_4)
	v_pk_fma_f32 v[32:33], v[14:15], v[22:23], v[6:7]
	v_mov_b32_e32 v37, v1
	v_pk_fma_f32 v[6:7], v[14:15], v[22:23], v[6:7] neg_lo:[0,0,1] neg_hi:[0,0,1]
	v_div_scale_f32 v14, null, v35, v35, v34
	v_mov_b32_e32 v7, v33
	s_delay_alu instid0(VALU_DEP_4) | instskip(SKIP_1) | instid1(VALU_DEP_4)
	v_pk_mul_f32 v[24:25], v[36:37], v[24:25]
	v_mul_f32_e32 v1, v46, v42
	v_rcp_f32_e32 v22, v14
	v_fma_f32 v32, -v45, v47, 1.0
	v_div_scale_f32 v15, s5, v12, v11, v12
	v_pk_mul_f32 v[6:7], v[24:25], v[6:7]
	s_delay_alu instid0(VALU_DEP_3) | instskip(SKIP_2) | instid1(VALU_DEP_3)
	v_dual_fma_f32 v10, -v41, v1, v46 :: v_dual_fmac_f32 v47, v32, v47
	v_div_fmas_f32 v24, v31, v40, v43
	s_mov_b32 vcc_lo, s4
	v_div_scale_f32 v23, null, v11, v11, v6
	s_delay_alu instid0(VALU_DEP_3) | instskip(SKIP_1) | instid1(VALU_DEP_3)
	v_dual_fmac_f32 v1, v10, v42 :: v_dual_mul_f32 v26, v15, v47
	v_fma_f32 v10, -v14, v22, 1.0
	v_rcp_f32_e32 v25, v23
	v_div_scale_f32 v31, null, v27, v27, v7
	v_add_f32_e32 v30, v30, v19
	s_delay_alu instid0(VALU_DEP_2) | instskip(NEXT) | instid1(TRANS32_DEP_2)
	v_rcp_f32_e32 v33, v31
	v_fma_f32 v32, -v23, v25, 1.0
	v_fmac_f32_e32 v22, v10, v22
	v_div_scale_f32 v10, s3, v34, v35, v34
	s_delay_alu instid0(VALU_DEP_3) | instskip(NEXT) | instid1(VALU_DEP_2)
	v_fmac_f32_e32 v25, v32, v25
	v_dual_fma_f32 v36, -v41, v1, v46 :: v_dual_mul_f32 v40, v10, v22
	v_fma_f32 v37, -v45, v26, v15
	v_div_scale_f32 v32, s6, v6, v11, v6
	v_fma_f32 v41, -v31, v33, 1.0
	s_delay_alu instid0(VALU_DEP_4) | instskip(SKIP_1) | instid1(VALU_DEP_4)
	v_div_fmas_f32 v1, v36, v42, v1
	v_fma_f32 v36, -v14, v40, v10
	v_dual_fmac_f32 v26, v37, v47 :: v_dual_mul_f32 v37, v32, v25
	s_delay_alu instid0(VALU_DEP_4) | instskip(SKIP_1) | instid1(VALU_DEP_4)
	v_fmac_f32_e32 v33, v41, v33
	v_div_scale_f32 v41, s4, v7, v27, v7
	v_fmac_f32_e32 v40, v36, v22
	v_div_fixup_f32 v13, v1, v27, v13
	v_dual_fma_f32 v1, -v45, v26, v15 :: v_dual_fma_f32 v15, -v23, v37, v32
	s_delay_alu instid0(VALU_DEP_3) | instskip(SKIP_1) | instid1(VALU_DEP_2)
	v_dual_mul_f32 v36, v41, v33 :: v_dual_fma_f32 v10, -v14, v40, v10
	s_mov_b32 vcc_lo, s5
	v_div_fmas_f32 v1, v1, v47, v26
	s_mov_b32 vcc_lo, s3
	s_delay_alu instid0(VALU_DEP_2)
	v_fma_f32 v14, -v31, v36, v41
	v_fmac_f32_e32 v37, v15, v25
	v_div_fmas_f32 v15, v10, v22, v40
	v_add_f32_e32 v10, v21, v38
	v_div_fixup_f32 v12, v1, v11, v12
	s_mov_b32 vcc_lo, s6
	v_fma_f32 v1, -v23, v37, v32
	v_div_fixup_f32 v15, v15, v35, v34
	v_fmac_f32_e32 v36, v14, v33
	s_delay_alu instid0(VALU_DEP_3) | instskip(SKIP_1) | instid1(VALU_DEP_2)
	v_div_fmas_f32 v1, v1, v25, v37
	s_mov_b32 vcc_lo, s4
	v_fma_f32 v14, -v31, v36, v41
	v_mov_b32_e32 v31, v11
	s_delay_alu instid0(VALU_DEP_3) | instskip(NEXT) | instid1(VALU_DEP_3)
	v_div_fixup_f32 v1, v1, v11, v6
	v_div_fmas_f32 v22, v14, v33, v36
	v_add_f32_e32 v14, v20, v39
	v_pk_add_f32 v[20:21], v[10:11], v[12:13] op_sel_hi:[0,1]
	v_add_f32_e32 v10, v44, v15
	v_div_fixup_f32 v20, v24, v11, v9
	v_div_fixup_f32 v7, v22, v27, v7
	v_mov_b32_e32 v15, v12
	v_cmp_lt_f32_e32 vcc_lo, v29, v8
	s_delay_alu instid0(VALU_DEP_3) | instskip(NEXT) | instid1(VALU_DEP_3)
	v_add_f32_e32 v6, v7, v10
	v_pk_add_f32 v[14:15], v[14:15], v[20:21]
	v_cndmask_b32_e32 v29, v29, v8, vcc_lo
	s_delay_alu instid0(VALU_DEP_3)
	v_add_f32_e32 v34, v1, v6
	s_or_b32 exec_lo, exec_lo, s7
	s_and_saveexec_b32 s6, s2
	s_cbranch_execnz .LBB9_31
	s_branch .LBB9_32
	.section	.rodata,"a",@progbits
	.p2align	6, 0x0
	.amdhsa_kernel _ZN7rocprim17ROCPRIM_400000_NS6detail17trampoline_kernelINS0_14default_configENS1_22reduce_config_selectorI18summary_stats_dataIfEEEZNS1_11reduce_implILb1ES3_PS6_S9_S6_23summary_stats_binary_opIfEEE10hipError_tPvRmT1_T2_T3_mT4_P12ihipStream_tbEUlT_E1_NS1_11comp_targetILNS1_3genE0ELNS1_11target_archE4294967295ELNS1_3gpuE0ELNS1_3repE0EEENS1_30default_config_static_selectorELNS0_4arch9wavefront6targetE0EEEvSF_
		.amdhsa_group_segment_fixed_size 896
		.amdhsa_private_segment_fixed_size 0
		.amdhsa_kernarg_size 64
		.amdhsa_user_sgpr_count 2
		.amdhsa_user_sgpr_dispatch_ptr 0
		.amdhsa_user_sgpr_queue_ptr 0
		.amdhsa_user_sgpr_kernarg_segment_ptr 1
		.amdhsa_user_sgpr_dispatch_id 0
		.amdhsa_user_sgpr_kernarg_preload_length 0
		.amdhsa_user_sgpr_kernarg_preload_offset 0
		.amdhsa_user_sgpr_private_segment_size 0
		.amdhsa_wavefront_size32 1
		.amdhsa_uses_dynamic_stack 0
		.amdhsa_enable_private_segment 0
		.amdhsa_system_sgpr_workgroup_id_x 1
		.amdhsa_system_sgpr_workgroup_id_y 0
		.amdhsa_system_sgpr_workgroup_id_z 0
		.amdhsa_system_sgpr_workgroup_info 0
		.amdhsa_system_vgpr_workitem_id 0
		.amdhsa_next_free_vgpr 59
		.amdhsa_next_free_sgpr 27
		.amdhsa_named_barrier_count 0
		.amdhsa_reserve_vcc 1
		.amdhsa_float_round_mode_32 0
		.amdhsa_float_round_mode_16_64 0
		.amdhsa_float_denorm_mode_32 3
		.amdhsa_float_denorm_mode_16_64 3
		.amdhsa_fp16_overflow 0
		.amdhsa_memory_ordered 1
		.amdhsa_forward_progress 1
		.amdhsa_inst_pref_size 255
		.amdhsa_round_robin_scheduling 0
		.amdhsa_exception_fp_ieee_invalid_op 0
		.amdhsa_exception_fp_denorm_src 0
		.amdhsa_exception_fp_ieee_div_zero 0
		.amdhsa_exception_fp_ieee_overflow 0
		.amdhsa_exception_fp_ieee_underflow 0
		.amdhsa_exception_fp_ieee_inexact 0
		.amdhsa_exception_int_div_zero 0
	.end_amdhsa_kernel
	.section	.text._ZN7rocprim17ROCPRIM_400000_NS6detail17trampoline_kernelINS0_14default_configENS1_22reduce_config_selectorI18summary_stats_dataIfEEEZNS1_11reduce_implILb1ES3_PS6_S9_S6_23summary_stats_binary_opIfEEE10hipError_tPvRmT1_T2_T3_mT4_P12ihipStream_tbEUlT_E1_NS1_11comp_targetILNS1_3genE0ELNS1_11target_archE4294967295ELNS1_3gpuE0ELNS1_3repE0EEENS1_30default_config_static_selectorELNS0_4arch9wavefront6targetE0EEEvSF_,"axG",@progbits,_ZN7rocprim17ROCPRIM_400000_NS6detail17trampoline_kernelINS0_14default_configENS1_22reduce_config_selectorI18summary_stats_dataIfEEEZNS1_11reduce_implILb1ES3_PS6_S9_S6_23summary_stats_binary_opIfEEE10hipError_tPvRmT1_T2_T3_mT4_P12ihipStream_tbEUlT_E1_NS1_11comp_targetILNS1_3genE0ELNS1_11target_archE4294967295ELNS1_3gpuE0ELNS1_3repE0EEENS1_30default_config_static_selectorELNS0_4arch9wavefront6targetE0EEEvSF_,comdat
.Lfunc_end9:
	.size	_ZN7rocprim17ROCPRIM_400000_NS6detail17trampoline_kernelINS0_14default_configENS1_22reduce_config_selectorI18summary_stats_dataIfEEEZNS1_11reduce_implILb1ES3_PS6_S9_S6_23summary_stats_binary_opIfEEE10hipError_tPvRmT1_T2_T3_mT4_P12ihipStream_tbEUlT_E1_NS1_11comp_targetILNS1_3genE0ELNS1_11target_archE4294967295ELNS1_3gpuE0ELNS1_3repE0EEENS1_30default_config_static_selectorELNS0_4arch9wavefront6targetE0EEEvSF_, .Lfunc_end9-_ZN7rocprim17ROCPRIM_400000_NS6detail17trampoline_kernelINS0_14default_configENS1_22reduce_config_selectorI18summary_stats_dataIfEEEZNS1_11reduce_implILb1ES3_PS6_S9_S6_23summary_stats_binary_opIfEEE10hipError_tPvRmT1_T2_T3_mT4_P12ihipStream_tbEUlT_E1_NS1_11comp_targetILNS1_3genE0ELNS1_11target_archE4294967295ELNS1_3gpuE0ELNS1_3repE0EEENS1_30default_config_static_selectorELNS0_4arch9wavefront6targetE0EEEvSF_
                                        ; -- End function
	.set _ZN7rocprim17ROCPRIM_400000_NS6detail17trampoline_kernelINS0_14default_configENS1_22reduce_config_selectorI18summary_stats_dataIfEEEZNS1_11reduce_implILb1ES3_PS6_S9_S6_23summary_stats_binary_opIfEEE10hipError_tPvRmT1_T2_T3_mT4_P12ihipStream_tbEUlT_E1_NS1_11comp_targetILNS1_3genE0ELNS1_11target_archE4294967295ELNS1_3gpuE0ELNS1_3repE0EEENS1_30default_config_static_selectorELNS0_4arch9wavefront6targetE0EEEvSF_.num_vgpr, 59
	.set _ZN7rocprim17ROCPRIM_400000_NS6detail17trampoline_kernelINS0_14default_configENS1_22reduce_config_selectorI18summary_stats_dataIfEEEZNS1_11reduce_implILb1ES3_PS6_S9_S6_23summary_stats_binary_opIfEEE10hipError_tPvRmT1_T2_T3_mT4_P12ihipStream_tbEUlT_E1_NS1_11comp_targetILNS1_3genE0ELNS1_11target_archE4294967295ELNS1_3gpuE0ELNS1_3repE0EEENS1_30default_config_static_selectorELNS0_4arch9wavefront6targetE0EEEvSF_.num_agpr, 0
	.set _ZN7rocprim17ROCPRIM_400000_NS6detail17trampoline_kernelINS0_14default_configENS1_22reduce_config_selectorI18summary_stats_dataIfEEEZNS1_11reduce_implILb1ES3_PS6_S9_S6_23summary_stats_binary_opIfEEE10hipError_tPvRmT1_T2_T3_mT4_P12ihipStream_tbEUlT_E1_NS1_11comp_targetILNS1_3genE0ELNS1_11target_archE4294967295ELNS1_3gpuE0ELNS1_3repE0EEENS1_30default_config_static_selectorELNS0_4arch9wavefront6targetE0EEEvSF_.numbered_sgpr, 27
	.set _ZN7rocprim17ROCPRIM_400000_NS6detail17trampoline_kernelINS0_14default_configENS1_22reduce_config_selectorI18summary_stats_dataIfEEEZNS1_11reduce_implILb1ES3_PS6_S9_S6_23summary_stats_binary_opIfEEE10hipError_tPvRmT1_T2_T3_mT4_P12ihipStream_tbEUlT_E1_NS1_11comp_targetILNS1_3genE0ELNS1_11target_archE4294967295ELNS1_3gpuE0ELNS1_3repE0EEENS1_30default_config_static_selectorELNS0_4arch9wavefront6targetE0EEEvSF_.num_named_barrier, 0
	.set _ZN7rocprim17ROCPRIM_400000_NS6detail17trampoline_kernelINS0_14default_configENS1_22reduce_config_selectorI18summary_stats_dataIfEEEZNS1_11reduce_implILb1ES3_PS6_S9_S6_23summary_stats_binary_opIfEEE10hipError_tPvRmT1_T2_T3_mT4_P12ihipStream_tbEUlT_E1_NS1_11comp_targetILNS1_3genE0ELNS1_11target_archE4294967295ELNS1_3gpuE0ELNS1_3repE0EEENS1_30default_config_static_selectorELNS0_4arch9wavefront6targetE0EEEvSF_.private_seg_size, 0
	.set _ZN7rocprim17ROCPRIM_400000_NS6detail17trampoline_kernelINS0_14default_configENS1_22reduce_config_selectorI18summary_stats_dataIfEEEZNS1_11reduce_implILb1ES3_PS6_S9_S6_23summary_stats_binary_opIfEEE10hipError_tPvRmT1_T2_T3_mT4_P12ihipStream_tbEUlT_E1_NS1_11comp_targetILNS1_3genE0ELNS1_11target_archE4294967295ELNS1_3gpuE0ELNS1_3repE0EEENS1_30default_config_static_selectorELNS0_4arch9wavefront6targetE0EEEvSF_.uses_vcc, 1
	.set _ZN7rocprim17ROCPRIM_400000_NS6detail17trampoline_kernelINS0_14default_configENS1_22reduce_config_selectorI18summary_stats_dataIfEEEZNS1_11reduce_implILb1ES3_PS6_S9_S6_23summary_stats_binary_opIfEEE10hipError_tPvRmT1_T2_T3_mT4_P12ihipStream_tbEUlT_E1_NS1_11comp_targetILNS1_3genE0ELNS1_11target_archE4294967295ELNS1_3gpuE0ELNS1_3repE0EEENS1_30default_config_static_selectorELNS0_4arch9wavefront6targetE0EEEvSF_.uses_flat_scratch, 0
	.set _ZN7rocprim17ROCPRIM_400000_NS6detail17trampoline_kernelINS0_14default_configENS1_22reduce_config_selectorI18summary_stats_dataIfEEEZNS1_11reduce_implILb1ES3_PS6_S9_S6_23summary_stats_binary_opIfEEE10hipError_tPvRmT1_T2_T3_mT4_P12ihipStream_tbEUlT_E1_NS1_11comp_targetILNS1_3genE0ELNS1_11target_archE4294967295ELNS1_3gpuE0ELNS1_3repE0EEENS1_30default_config_static_selectorELNS0_4arch9wavefront6targetE0EEEvSF_.has_dyn_sized_stack, 0
	.set _ZN7rocprim17ROCPRIM_400000_NS6detail17trampoline_kernelINS0_14default_configENS1_22reduce_config_selectorI18summary_stats_dataIfEEEZNS1_11reduce_implILb1ES3_PS6_S9_S6_23summary_stats_binary_opIfEEE10hipError_tPvRmT1_T2_T3_mT4_P12ihipStream_tbEUlT_E1_NS1_11comp_targetILNS1_3genE0ELNS1_11target_archE4294967295ELNS1_3gpuE0ELNS1_3repE0EEENS1_30default_config_static_selectorELNS0_4arch9wavefront6targetE0EEEvSF_.has_recursion, 0
	.set _ZN7rocprim17ROCPRIM_400000_NS6detail17trampoline_kernelINS0_14default_configENS1_22reduce_config_selectorI18summary_stats_dataIfEEEZNS1_11reduce_implILb1ES3_PS6_S9_S6_23summary_stats_binary_opIfEEE10hipError_tPvRmT1_T2_T3_mT4_P12ihipStream_tbEUlT_E1_NS1_11comp_targetILNS1_3genE0ELNS1_11target_archE4294967295ELNS1_3gpuE0ELNS1_3repE0EEENS1_30default_config_static_selectorELNS0_4arch9wavefront6targetE0EEEvSF_.has_indirect_call, 0
	.section	.AMDGPU.csdata,"",@progbits
; Kernel info:
; codeLenInByte = 62096
; TotalNumSgprs: 29
; NumVgprs: 59
; ScratchSize: 0
; MemoryBound: 1
; FloatMode: 240
; IeeeMode: 1
; LDSByteSize: 896 bytes/workgroup (compile time only)
; SGPRBlocks: 0
; VGPRBlocks: 3
; NumSGPRsForWavesPerEU: 29
; NumVGPRsForWavesPerEU: 59
; NamedBarCnt: 0
; Occupancy: 16
; WaveLimiterHint : 1
; COMPUTE_PGM_RSRC2:SCRATCH_EN: 0
; COMPUTE_PGM_RSRC2:USER_SGPR: 2
; COMPUTE_PGM_RSRC2:TRAP_HANDLER: 0
; COMPUTE_PGM_RSRC2:TGID_X_EN: 1
; COMPUTE_PGM_RSRC2:TGID_Y_EN: 0
; COMPUTE_PGM_RSRC2:TGID_Z_EN: 0
; COMPUTE_PGM_RSRC2:TIDIG_COMP_CNT: 0
	.section	.text._ZN7rocprim17ROCPRIM_400000_NS6detail17trampoline_kernelINS0_14default_configENS1_22reduce_config_selectorI18summary_stats_dataIfEEEZNS1_11reduce_implILb1ES3_PS6_S9_S6_23summary_stats_binary_opIfEEE10hipError_tPvRmT1_T2_T3_mT4_P12ihipStream_tbEUlT_E1_NS1_11comp_targetILNS1_3genE5ELNS1_11target_archE942ELNS1_3gpuE9ELNS1_3repE0EEENS1_30default_config_static_selectorELNS0_4arch9wavefront6targetE0EEEvSF_,"axG",@progbits,_ZN7rocprim17ROCPRIM_400000_NS6detail17trampoline_kernelINS0_14default_configENS1_22reduce_config_selectorI18summary_stats_dataIfEEEZNS1_11reduce_implILb1ES3_PS6_S9_S6_23summary_stats_binary_opIfEEE10hipError_tPvRmT1_T2_T3_mT4_P12ihipStream_tbEUlT_E1_NS1_11comp_targetILNS1_3genE5ELNS1_11target_archE942ELNS1_3gpuE9ELNS1_3repE0EEENS1_30default_config_static_selectorELNS0_4arch9wavefront6targetE0EEEvSF_,comdat
	.protected	_ZN7rocprim17ROCPRIM_400000_NS6detail17trampoline_kernelINS0_14default_configENS1_22reduce_config_selectorI18summary_stats_dataIfEEEZNS1_11reduce_implILb1ES3_PS6_S9_S6_23summary_stats_binary_opIfEEE10hipError_tPvRmT1_T2_T3_mT4_P12ihipStream_tbEUlT_E1_NS1_11comp_targetILNS1_3genE5ELNS1_11target_archE942ELNS1_3gpuE9ELNS1_3repE0EEENS1_30default_config_static_selectorELNS0_4arch9wavefront6targetE0EEEvSF_ ; -- Begin function _ZN7rocprim17ROCPRIM_400000_NS6detail17trampoline_kernelINS0_14default_configENS1_22reduce_config_selectorI18summary_stats_dataIfEEEZNS1_11reduce_implILb1ES3_PS6_S9_S6_23summary_stats_binary_opIfEEE10hipError_tPvRmT1_T2_T3_mT4_P12ihipStream_tbEUlT_E1_NS1_11comp_targetILNS1_3genE5ELNS1_11target_archE942ELNS1_3gpuE9ELNS1_3repE0EEENS1_30default_config_static_selectorELNS0_4arch9wavefront6targetE0EEEvSF_
	.globl	_ZN7rocprim17ROCPRIM_400000_NS6detail17trampoline_kernelINS0_14default_configENS1_22reduce_config_selectorI18summary_stats_dataIfEEEZNS1_11reduce_implILb1ES3_PS6_S9_S6_23summary_stats_binary_opIfEEE10hipError_tPvRmT1_T2_T3_mT4_P12ihipStream_tbEUlT_E1_NS1_11comp_targetILNS1_3genE5ELNS1_11target_archE942ELNS1_3gpuE9ELNS1_3repE0EEENS1_30default_config_static_selectorELNS0_4arch9wavefront6targetE0EEEvSF_
	.p2align	8
	.type	_ZN7rocprim17ROCPRIM_400000_NS6detail17trampoline_kernelINS0_14default_configENS1_22reduce_config_selectorI18summary_stats_dataIfEEEZNS1_11reduce_implILb1ES3_PS6_S9_S6_23summary_stats_binary_opIfEEE10hipError_tPvRmT1_T2_T3_mT4_P12ihipStream_tbEUlT_E1_NS1_11comp_targetILNS1_3genE5ELNS1_11target_archE942ELNS1_3gpuE9ELNS1_3repE0EEENS1_30default_config_static_selectorELNS0_4arch9wavefront6targetE0EEEvSF_,@function
_ZN7rocprim17ROCPRIM_400000_NS6detail17trampoline_kernelINS0_14default_configENS1_22reduce_config_selectorI18summary_stats_dataIfEEEZNS1_11reduce_implILb1ES3_PS6_S9_S6_23summary_stats_binary_opIfEEE10hipError_tPvRmT1_T2_T3_mT4_P12ihipStream_tbEUlT_E1_NS1_11comp_targetILNS1_3genE5ELNS1_11target_archE942ELNS1_3gpuE9ELNS1_3repE0EEENS1_30default_config_static_selectorELNS0_4arch9wavefront6targetE0EEEvSF_: ; @_ZN7rocprim17ROCPRIM_400000_NS6detail17trampoline_kernelINS0_14default_configENS1_22reduce_config_selectorI18summary_stats_dataIfEEEZNS1_11reduce_implILb1ES3_PS6_S9_S6_23summary_stats_binary_opIfEEE10hipError_tPvRmT1_T2_T3_mT4_P12ihipStream_tbEUlT_E1_NS1_11comp_targetILNS1_3genE5ELNS1_11target_archE942ELNS1_3gpuE9ELNS1_3repE0EEENS1_30default_config_static_selectorELNS0_4arch9wavefront6targetE0EEEvSF_
; %bb.0:
	.section	.rodata,"a",@progbits
	.p2align	6, 0x0
	.amdhsa_kernel _ZN7rocprim17ROCPRIM_400000_NS6detail17trampoline_kernelINS0_14default_configENS1_22reduce_config_selectorI18summary_stats_dataIfEEEZNS1_11reduce_implILb1ES3_PS6_S9_S6_23summary_stats_binary_opIfEEE10hipError_tPvRmT1_T2_T3_mT4_P12ihipStream_tbEUlT_E1_NS1_11comp_targetILNS1_3genE5ELNS1_11target_archE942ELNS1_3gpuE9ELNS1_3repE0EEENS1_30default_config_static_selectorELNS0_4arch9wavefront6targetE0EEEvSF_
		.amdhsa_group_segment_fixed_size 0
		.amdhsa_private_segment_fixed_size 0
		.amdhsa_kernarg_size 64
		.amdhsa_user_sgpr_count 2
		.amdhsa_user_sgpr_dispatch_ptr 0
		.amdhsa_user_sgpr_queue_ptr 0
		.amdhsa_user_sgpr_kernarg_segment_ptr 1
		.amdhsa_user_sgpr_dispatch_id 0
		.amdhsa_user_sgpr_kernarg_preload_length 0
		.amdhsa_user_sgpr_kernarg_preload_offset 0
		.amdhsa_user_sgpr_private_segment_size 0
		.amdhsa_wavefront_size32 1
		.amdhsa_uses_dynamic_stack 0
		.amdhsa_enable_private_segment 0
		.amdhsa_system_sgpr_workgroup_id_x 1
		.amdhsa_system_sgpr_workgroup_id_y 0
		.amdhsa_system_sgpr_workgroup_id_z 0
		.amdhsa_system_sgpr_workgroup_info 0
		.amdhsa_system_vgpr_workitem_id 0
		.amdhsa_next_free_vgpr 1
		.amdhsa_next_free_sgpr 1
		.amdhsa_named_barrier_count 0
		.amdhsa_reserve_vcc 0
		.amdhsa_float_round_mode_32 0
		.amdhsa_float_round_mode_16_64 0
		.amdhsa_float_denorm_mode_32 3
		.amdhsa_float_denorm_mode_16_64 3
		.amdhsa_fp16_overflow 0
		.amdhsa_memory_ordered 1
		.amdhsa_forward_progress 1
		.amdhsa_inst_pref_size 0
		.amdhsa_round_robin_scheduling 0
		.amdhsa_exception_fp_ieee_invalid_op 0
		.amdhsa_exception_fp_denorm_src 0
		.amdhsa_exception_fp_ieee_div_zero 0
		.amdhsa_exception_fp_ieee_overflow 0
		.amdhsa_exception_fp_ieee_underflow 0
		.amdhsa_exception_fp_ieee_inexact 0
		.amdhsa_exception_int_div_zero 0
	.end_amdhsa_kernel
	.section	.text._ZN7rocprim17ROCPRIM_400000_NS6detail17trampoline_kernelINS0_14default_configENS1_22reduce_config_selectorI18summary_stats_dataIfEEEZNS1_11reduce_implILb1ES3_PS6_S9_S6_23summary_stats_binary_opIfEEE10hipError_tPvRmT1_T2_T3_mT4_P12ihipStream_tbEUlT_E1_NS1_11comp_targetILNS1_3genE5ELNS1_11target_archE942ELNS1_3gpuE9ELNS1_3repE0EEENS1_30default_config_static_selectorELNS0_4arch9wavefront6targetE0EEEvSF_,"axG",@progbits,_ZN7rocprim17ROCPRIM_400000_NS6detail17trampoline_kernelINS0_14default_configENS1_22reduce_config_selectorI18summary_stats_dataIfEEEZNS1_11reduce_implILb1ES3_PS6_S9_S6_23summary_stats_binary_opIfEEE10hipError_tPvRmT1_T2_T3_mT4_P12ihipStream_tbEUlT_E1_NS1_11comp_targetILNS1_3genE5ELNS1_11target_archE942ELNS1_3gpuE9ELNS1_3repE0EEENS1_30default_config_static_selectorELNS0_4arch9wavefront6targetE0EEEvSF_,comdat
.Lfunc_end10:
	.size	_ZN7rocprim17ROCPRIM_400000_NS6detail17trampoline_kernelINS0_14default_configENS1_22reduce_config_selectorI18summary_stats_dataIfEEEZNS1_11reduce_implILb1ES3_PS6_S9_S6_23summary_stats_binary_opIfEEE10hipError_tPvRmT1_T2_T3_mT4_P12ihipStream_tbEUlT_E1_NS1_11comp_targetILNS1_3genE5ELNS1_11target_archE942ELNS1_3gpuE9ELNS1_3repE0EEENS1_30default_config_static_selectorELNS0_4arch9wavefront6targetE0EEEvSF_, .Lfunc_end10-_ZN7rocprim17ROCPRIM_400000_NS6detail17trampoline_kernelINS0_14default_configENS1_22reduce_config_selectorI18summary_stats_dataIfEEEZNS1_11reduce_implILb1ES3_PS6_S9_S6_23summary_stats_binary_opIfEEE10hipError_tPvRmT1_T2_T3_mT4_P12ihipStream_tbEUlT_E1_NS1_11comp_targetILNS1_3genE5ELNS1_11target_archE942ELNS1_3gpuE9ELNS1_3repE0EEENS1_30default_config_static_selectorELNS0_4arch9wavefront6targetE0EEEvSF_
                                        ; -- End function
	.set _ZN7rocprim17ROCPRIM_400000_NS6detail17trampoline_kernelINS0_14default_configENS1_22reduce_config_selectorI18summary_stats_dataIfEEEZNS1_11reduce_implILb1ES3_PS6_S9_S6_23summary_stats_binary_opIfEEE10hipError_tPvRmT1_T2_T3_mT4_P12ihipStream_tbEUlT_E1_NS1_11comp_targetILNS1_3genE5ELNS1_11target_archE942ELNS1_3gpuE9ELNS1_3repE0EEENS1_30default_config_static_selectorELNS0_4arch9wavefront6targetE0EEEvSF_.num_vgpr, 0
	.set _ZN7rocprim17ROCPRIM_400000_NS6detail17trampoline_kernelINS0_14default_configENS1_22reduce_config_selectorI18summary_stats_dataIfEEEZNS1_11reduce_implILb1ES3_PS6_S9_S6_23summary_stats_binary_opIfEEE10hipError_tPvRmT1_T2_T3_mT4_P12ihipStream_tbEUlT_E1_NS1_11comp_targetILNS1_3genE5ELNS1_11target_archE942ELNS1_3gpuE9ELNS1_3repE0EEENS1_30default_config_static_selectorELNS0_4arch9wavefront6targetE0EEEvSF_.num_agpr, 0
	.set _ZN7rocprim17ROCPRIM_400000_NS6detail17trampoline_kernelINS0_14default_configENS1_22reduce_config_selectorI18summary_stats_dataIfEEEZNS1_11reduce_implILb1ES3_PS6_S9_S6_23summary_stats_binary_opIfEEE10hipError_tPvRmT1_T2_T3_mT4_P12ihipStream_tbEUlT_E1_NS1_11comp_targetILNS1_3genE5ELNS1_11target_archE942ELNS1_3gpuE9ELNS1_3repE0EEENS1_30default_config_static_selectorELNS0_4arch9wavefront6targetE0EEEvSF_.numbered_sgpr, 0
	.set _ZN7rocprim17ROCPRIM_400000_NS6detail17trampoline_kernelINS0_14default_configENS1_22reduce_config_selectorI18summary_stats_dataIfEEEZNS1_11reduce_implILb1ES3_PS6_S9_S6_23summary_stats_binary_opIfEEE10hipError_tPvRmT1_T2_T3_mT4_P12ihipStream_tbEUlT_E1_NS1_11comp_targetILNS1_3genE5ELNS1_11target_archE942ELNS1_3gpuE9ELNS1_3repE0EEENS1_30default_config_static_selectorELNS0_4arch9wavefront6targetE0EEEvSF_.num_named_barrier, 0
	.set _ZN7rocprim17ROCPRIM_400000_NS6detail17trampoline_kernelINS0_14default_configENS1_22reduce_config_selectorI18summary_stats_dataIfEEEZNS1_11reduce_implILb1ES3_PS6_S9_S6_23summary_stats_binary_opIfEEE10hipError_tPvRmT1_T2_T3_mT4_P12ihipStream_tbEUlT_E1_NS1_11comp_targetILNS1_3genE5ELNS1_11target_archE942ELNS1_3gpuE9ELNS1_3repE0EEENS1_30default_config_static_selectorELNS0_4arch9wavefront6targetE0EEEvSF_.private_seg_size, 0
	.set _ZN7rocprim17ROCPRIM_400000_NS6detail17trampoline_kernelINS0_14default_configENS1_22reduce_config_selectorI18summary_stats_dataIfEEEZNS1_11reduce_implILb1ES3_PS6_S9_S6_23summary_stats_binary_opIfEEE10hipError_tPvRmT1_T2_T3_mT4_P12ihipStream_tbEUlT_E1_NS1_11comp_targetILNS1_3genE5ELNS1_11target_archE942ELNS1_3gpuE9ELNS1_3repE0EEENS1_30default_config_static_selectorELNS0_4arch9wavefront6targetE0EEEvSF_.uses_vcc, 0
	.set _ZN7rocprim17ROCPRIM_400000_NS6detail17trampoline_kernelINS0_14default_configENS1_22reduce_config_selectorI18summary_stats_dataIfEEEZNS1_11reduce_implILb1ES3_PS6_S9_S6_23summary_stats_binary_opIfEEE10hipError_tPvRmT1_T2_T3_mT4_P12ihipStream_tbEUlT_E1_NS1_11comp_targetILNS1_3genE5ELNS1_11target_archE942ELNS1_3gpuE9ELNS1_3repE0EEENS1_30default_config_static_selectorELNS0_4arch9wavefront6targetE0EEEvSF_.uses_flat_scratch, 0
	.set _ZN7rocprim17ROCPRIM_400000_NS6detail17trampoline_kernelINS0_14default_configENS1_22reduce_config_selectorI18summary_stats_dataIfEEEZNS1_11reduce_implILb1ES3_PS6_S9_S6_23summary_stats_binary_opIfEEE10hipError_tPvRmT1_T2_T3_mT4_P12ihipStream_tbEUlT_E1_NS1_11comp_targetILNS1_3genE5ELNS1_11target_archE942ELNS1_3gpuE9ELNS1_3repE0EEENS1_30default_config_static_selectorELNS0_4arch9wavefront6targetE0EEEvSF_.has_dyn_sized_stack, 0
	.set _ZN7rocprim17ROCPRIM_400000_NS6detail17trampoline_kernelINS0_14default_configENS1_22reduce_config_selectorI18summary_stats_dataIfEEEZNS1_11reduce_implILb1ES3_PS6_S9_S6_23summary_stats_binary_opIfEEE10hipError_tPvRmT1_T2_T3_mT4_P12ihipStream_tbEUlT_E1_NS1_11comp_targetILNS1_3genE5ELNS1_11target_archE942ELNS1_3gpuE9ELNS1_3repE0EEENS1_30default_config_static_selectorELNS0_4arch9wavefront6targetE0EEEvSF_.has_recursion, 0
	.set _ZN7rocprim17ROCPRIM_400000_NS6detail17trampoline_kernelINS0_14default_configENS1_22reduce_config_selectorI18summary_stats_dataIfEEEZNS1_11reduce_implILb1ES3_PS6_S9_S6_23summary_stats_binary_opIfEEE10hipError_tPvRmT1_T2_T3_mT4_P12ihipStream_tbEUlT_E1_NS1_11comp_targetILNS1_3genE5ELNS1_11target_archE942ELNS1_3gpuE9ELNS1_3repE0EEENS1_30default_config_static_selectorELNS0_4arch9wavefront6targetE0EEEvSF_.has_indirect_call, 0
	.section	.AMDGPU.csdata,"",@progbits
; Kernel info:
; codeLenInByte = 0
; TotalNumSgprs: 0
; NumVgprs: 0
; ScratchSize: 0
; MemoryBound: 0
; FloatMode: 240
; IeeeMode: 1
; LDSByteSize: 0 bytes/workgroup (compile time only)
; SGPRBlocks: 0
; VGPRBlocks: 0
; NumSGPRsForWavesPerEU: 1
; NumVGPRsForWavesPerEU: 1
; NamedBarCnt: 0
; Occupancy: 16
; WaveLimiterHint : 0
; COMPUTE_PGM_RSRC2:SCRATCH_EN: 0
; COMPUTE_PGM_RSRC2:USER_SGPR: 2
; COMPUTE_PGM_RSRC2:TRAP_HANDLER: 0
; COMPUTE_PGM_RSRC2:TGID_X_EN: 1
; COMPUTE_PGM_RSRC2:TGID_Y_EN: 0
; COMPUTE_PGM_RSRC2:TGID_Z_EN: 0
; COMPUTE_PGM_RSRC2:TIDIG_COMP_CNT: 0
	.section	.text._ZN7rocprim17ROCPRIM_400000_NS6detail17trampoline_kernelINS0_14default_configENS1_22reduce_config_selectorI18summary_stats_dataIfEEEZNS1_11reduce_implILb1ES3_PS6_S9_S6_23summary_stats_binary_opIfEEE10hipError_tPvRmT1_T2_T3_mT4_P12ihipStream_tbEUlT_E1_NS1_11comp_targetILNS1_3genE4ELNS1_11target_archE910ELNS1_3gpuE8ELNS1_3repE0EEENS1_30default_config_static_selectorELNS0_4arch9wavefront6targetE0EEEvSF_,"axG",@progbits,_ZN7rocprim17ROCPRIM_400000_NS6detail17trampoline_kernelINS0_14default_configENS1_22reduce_config_selectorI18summary_stats_dataIfEEEZNS1_11reduce_implILb1ES3_PS6_S9_S6_23summary_stats_binary_opIfEEE10hipError_tPvRmT1_T2_T3_mT4_P12ihipStream_tbEUlT_E1_NS1_11comp_targetILNS1_3genE4ELNS1_11target_archE910ELNS1_3gpuE8ELNS1_3repE0EEENS1_30default_config_static_selectorELNS0_4arch9wavefront6targetE0EEEvSF_,comdat
	.protected	_ZN7rocprim17ROCPRIM_400000_NS6detail17trampoline_kernelINS0_14default_configENS1_22reduce_config_selectorI18summary_stats_dataIfEEEZNS1_11reduce_implILb1ES3_PS6_S9_S6_23summary_stats_binary_opIfEEE10hipError_tPvRmT1_T2_T3_mT4_P12ihipStream_tbEUlT_E1_NS1_11comp_targetILNS1_3genE4ELNS1_11target_archE910ELNS1_3gpuE8ELNS1_3repE0EEENS1_30default_config_static_selectorELNS0_4arch9wavefront6targetE0EEEvSF_ ; -- Begin function _ZN7rocprim17ROCPRIM_400000_NS6detail17trampoline_kernelINS0_14default_configENS1_22reduce_config_selectorI18summary_stats_dataIfEEEZNS1_11reduce_implILb1ES3_PS6_S9_S6_23summary_stats_binary_opIfEEE10hipError_tPvRmT1_T2_T3_mT4_P12ihipStream_tbEUlT_E1_NS1_11comp_targetILNS1_3genE4ELNS1_11target_archE910ELNS1_3gpuE8ELNS1_3repE0EEENS1_30default_config_static_selectorELNS0_4arch9wavefront6targetE0EEEvSF_
	.globl	_ZN7rocprim17ROCPRIM_400000_NS6detail17trampoline_kernelINS0_14default_configENS1_22reduce_config_selectorI18summary_stats_dataIfEEEZNS1_11reduce_implILb1ES3_PS6_S9_S6_23summary_stats_binary_opIfEEE10hipError_tPvRmT1_T2_T3_mT4_P12ihipStream_tbEUlT_E1_NS1_11comp_targetILNS1_3genE4ELNS1_11target_archE910ELNS1_3gpuE8ELNS1_3repE0EEENS1_30default_config_static_selectorELNS0_4arch9wavefront6targetE0EEEvSF_
	.p2align	8
	.type	_ZN7rocprim17ROCPRIM_400000_NS6detail17trampoline_kernelINS0_14default_configENS1_22reduce_config_selectorI18summary_stats_dataIfEEEZNS1_11reduce_implILb1ES3_PS6_S9_S6_23summary_stats_binary_opIfEEE10hipError_tPvRmT1_T2_T3_mT4_P12ihipStream_tbEUlT_E1_NS1_11comp_targetILNS1_3genE4ELNS1_11target_archE910ELNS1_3gpuE8ELNS1_3repE0EEENS1_30default_config_static_selectorELNS0_4arch9wavefront6targetE0EEEvSF_,@function
_ZN7rocprim17ROCPRIM_400000_NS6detail17trampoline_kernelINS0_14default_configENS1_22reduce_config_selectorI18summary_stats_dataIfEEEZNS1_11reduce_implILb1ES3_PS6_S9_S6_23summary_stats_binary_opIfEEE10hipError_tPvRmT1_T2_T3_mT4_P12ihipStream_tbEUlT_E1_NS1_11comp_targetILNS1_3genE4ELNS1_11target_archE910ELNS1_3gpuE8ELNS1_3repE0EEENS1_30default_config_static_selectorELNS0_4arch9wavefront6targetE0EEEvSF_: ; @_ZN7rocprim17ROCPRIM_400000_NS6detail17trampoline_kernelINS0_14default_configENS1_22reduce_config_selectorI18summary_stats_dataIfEEEZNS1_11reduce_implILb1ES3_PS6_S9_S6_23summary_stats_binary_opIfEEE10hipError_tPvRmT1_T2_T3_mT4_P12ihipStream_tbEUlT_E1_NS1_11comp_targetILNS1_3genE4ELNS1_11target_archE910ELNS1_3gpuE8ELNS1_3repE0EEENS1_30default_config_static_selectorELNS0_4arch9wavefront6targetE0EEEvSF_
; %bb.0:
	.section	.rodata,"a",@progbits
	.p2align	6, 0x0
	.amdhsa_kernel _ZN7rocprim17ROCPRIM_400000_NS6detail17trampoline_kernelINS0_14default_configENS1_22reduce_config_selectorI18summary_stats_dataIfEEEZNS1_11reduce_implILb1ES3_PS6_S9_S6_23summary_stats_binary_opIfEEE10hipError_tPvRmT1_T2_T3_mT4_P12ihipStream_tbEUlT_E1_NS1_11comp_targetILNS1_3genE4ELNS1_11target_archE910ELNS1_3gpuE8ELNS1_3repE0EEENS1_30default_config_static_selectorELNS0_4arch9wavefront6targetE0EEEvSF_
		.amdhsa_group_segment_fixed_size 0
		.amdhsa_private_segment_fixed_size 0
		.amdhsa_kernarg_size 64
		.amdhsa_user_sgpr_count 2
		.amdhsa_user_sgpr_dispatch_ptr 0
		.amdhsa_user_sgpr_queue_ptr 0
		.amdhsa_user_sgpr_kernarg_segment_ptr 1
		.amdhsa_user_sgpr_dispatch_id 0
		.amdhsa_user_sgpr_kernarg_preload_length 0
		.amdhsa_user_sgpr_kernarg_preload_offset 0
		.amdhsa_user_sgpr_private_segment_size 0
		.amdhsa_wavefront_size32 1
		.amdhsa_uses_dynamic_stack 0
		.amdhsa_enable_private_segment 0
		.amdhsa_system_sgpr_workgroup_id_x 1
		.amdhsa_system_sgpr_workgroup_id_y 0
		.amdhsa_system_sgpr_workgroup_id_z 0
		.amdhsa_system_sgpr_workgroup_info 0
		.amdhsa_system_vgpr_workitem_id 0
		.amdhsa_next_free_vgpr 1
		.amdhsa_next_free_sgpr 1
		.amdhsa_named_barrier_count 0
		.amdhsa_reserve_vcc 0
		.amdhsa_float_round_mode_32 0
		.amdhsa_float_round_mode_16_64 0
		.amdhsa_float_denorm_mode_32 3
		.amdhsa_float_denorm_mode_16_64 3
		.amdhsa_fp16_overflow 0
		.amdhsa_memory_ordered 1
		.amdhsa_forward_progress 1
		.amdhsa_inst_pref_size 0
		.amdhsa_round_robin_scheduling 0
		.amdhsa_exception_fp_ieee_invalid_op 0
		.amdhsa_exception_fp_denorm_src 0
		.amdhsa_exception_fp_ieee_div_zero 0
		.amdhsa_exception_fp_ieee_overflow 0
		.amdhsa_exception_fp_ieee_underflow 0
		.amdhsa_exception_fp_ieee_inexact 0
		.amdhsa_exception_int_div_zero 0
	.end_amdhsa_kernel
	.section	.text._ZN7rocprim17ROCPRIM_400000_NS6detail17trampoline_kernelINS0_14default_configENS1_22reduce_config_selectorI18summary_stats_dataIfEEEZNS1_11reduce_implILb1ES3_PS6_S9_S6_23summary_stats_binary_opIfEEE10hipError_tPvRmT1_T2_T3_mT4_P12ihipStream_tbEUlT_E1_NS1_11comp_targetILNS1_3genE4ELNS1_11target_archE910ELNS1_3gpuE8ELNS1_3repE0EEENS1_30default_config_static_selectorELNS0_4arch9wavefront6targetE0EEEvSF_,"axG",@progbits,_ZN7rocprim17ROCPRIM_400000_NS6detail17trampoline_kernelINS0_14default_configENS1_22reduce_config_selectorI18summary_stats_dataIfEEEZNS1_11reduce_implILb1ES3_PS6_S9_S6_23summary_stats_binary_opIfEEE10hipError_tPvRmT1_T2_T3_mT4_P12ihipStream_tbEUlT_E1_NS1_11comp_targetILNS1_3genE4ELNS1_11target_archE910ELNS1_3gpuE8ELNS1_3repE0EEENS1_30default_config_static_selectorELNS0_4arch9wavefront6targetE0EEEvSF_,comdat
.Lfunc_end11:
	.size	_ZN7rocprim17ROCPRIM_400000_NS6detail17trampoline_kernelINS0_14default_configENS1_22reduce_config_selectorI18summary_stats_dataIfEEEZNS1_11reduce_implILb1ES3_PS6_S9_S6_23summary_stats_binary_opIfEEE10hipError_tPvRmT1_T2_T3_mT4_P12ihipStream_tbEUlT_E1_NS1_11comp_targetILNS1_3genE4ELNS1_11target_archE910ELNS1_3gpuE8ELNS1_3repE0EEENS1_30default_config_static_selectorELNS0_4arch9wavefront6targetE0EEEvSF_, .Lfunc_end11-_ZN7rocprim17ROCPRIM_400000_NS6detail17trampoline_kernelINS0_14default_configENS1_22reduce_config_selectorI18summary_stats_dataIfEEEZNS1_11reduce_implILb1ES3_PS6_S9_S6_23summary_stats_binary_opIfEEE10hipError_tPvRmT1_T2_T3_mT4_P12ihipStream_tbEUlT_E1_NS1_11comp_targetILNS1_3genE4ELNS1_11target_archE910ELNS1_3gpuE8ELNS1_3repE0EEENS1_30default_config_static_selectorELNS0_4arch9wavefront6targetE0EEEvSF_
                                        ; -- End function
	.set _ZN7rocprim17ROCPRIM_400000_NS6detail17trampoline_kernelINS0_14default_configENS1_22reduce_config_selectorI18summary_stats_dataIfEEEZNS1_11reduce_implILb1ES3_PS6_S9_S6_23summary_stats_binary_opIfEEE10hipError_tPvRmT1_T2_T3_mT4_P12ihipStream_tbEUlT_E1_NS1_11comp_targetILNS1_3genE4ELNS1_11target_archE910ELNS1_3gpuE8ELNS1_3repE0EEENS1_30default_config_static_selectorELNS0_4arch9wavefront6targetE0EEEvSF_.num_vgpr, 0
	.set _ZN7rocprim17ROCPRIM_400000_NS6detail17trampoline_kernelINS0_14default_configENS1_22reduce_config_selectorI18summary_stats_dataIfEEEZNS1_11reduce_implILb1ES3_PS6_S9_S6_23summary_stats_binary_opIfEEE10hipError_tPvRmT1_T2_T3_mT4_P12ihipStream_tbEUlT_E1_NS1_11comp_targetILNS1_3genE4ELNS1_11target_archE910ELNS1_3gpuE8ELNS1_3repE0EEENS1_30default_config_static_selectorELNS0_4arch9wavefront6targetE0EEEvSF_.num_agpr, 0
	.set _ZN7rocprim17ROCPRIM_400000_NS6detail17trampoline_kernelINS0_14default_configENS1_22reduce_config_selectorI18summary_stats_dataIfEEEZNS1_11reduce_implILb1ES3_PS6_S9_S6_23summary_stats_binary_opIfEEE10hipError_tPvRmT1_T2_T3_mT4_P12ihipStream_tbEUlT_E1_NS1_11comp_targetILNS1_3genE4ELNS1_11target_archE910ELNS1_3gpuE8ELNS1_3repE0EEENS1_30default_config_static_selectorELNS0_4arch9wavefront6targetE0EEEvSF_.numbered_sgpr, 0
	.set _ZN7rocprim17ROCPRIM_400000_NS6detail17trampoline_kernelINS0_14default_configENS1_22reduce_config_selectorI18summary_stats_dataIfEEEZNS1_11reduce_implILb1ES3_PS6_S9_S6_23summary_stats_binary_opIfEEE10hipError_tPvRmT1_T2_T3_mT4_P12ihipStream_tbEUlT_E1_NS1_11comp_targetILNS1_3genE4ELNS1_11target_archE910ELNS1_3gpuE8ELNS1_3repE0EEENS1_30default_config_static_selectorELNS0_4arch9wavefront6targetE0EEEvSF_.num_named_barrier, 0
	.set _ZN7rocprim17ROCPRIM_400000_NS6detail17trampoline_kernelINS0_14default_configENS1_22reduce_config_selectorI18summary_stats_dataIfEEEZNS1_11reduce_implILb1ES3_PS6_S9_S6_23summary_stats_binary_opIfEEE10hipError_tPvRmT1_T2_T3_mT4_P12ihipStream_tbEUlT_E1_NS1_11comp_targetILNS1_3genE4ELNS1_11target_archE910ELNS1_3gpuE8ELNS1_3repE0EEENS1_30default_config_static_selectorELNS0_4arch9wavefront6targetE0EEEvSF_.private_seg_size, 0
	.set _ZN7rocprim17ROCPRIM_400000_NS6detail17trampoline_kernelINS0_14default_configENS1_22reduce_config_selectorI18summary_stats_dataIfEEEZNS1_11reduce_implILb1ES3_PS6_S9_S6_23summary_stats_binary_opIfEEE10hipError_tPvRmT1_T2_T3_mT4_P12ihipStream_tbEUlT_E1_NS1_11comp_targetILNS1_3genE4ELNS1_11target_archE910ELNS1_3gpuE8ELNS1_3repE0EEENS1_30default_config_static_selectorELNS0_4arch9wavefront6targetE0EEEvSF_.uses_vcc, 0
	.set _ZN7rocprim17ROCPRIM_400000_NS6detail17trampoline_kernelINS0_14default_configENS1_22reduce_config_selectorI18summary_stats_dataIfEEEZNS1_11reduce_implILb1ES3_PS6_S9_S6_23summary_stats_binary_opIfEEE10hipError_tPvRmT1_T2_T3_mT4_P12ihipStream_tbEUlT_E1_NS1_11comp_targetILNS1_3genE4ELNS1_11target_archE910ELNS1_3gpuE8ELNS1_3repE0EEENS1_30default_config_static_selectorELNS0_4arch9wavefront6targetE0EEEvSF_.uses_flat_scratch, 0
	.set _ZN7rocprim17ROCPRIM_400000_NS6detail17trampoline_kernelINS0_14default_configENS1_22reduce_config_selectorI18summary_stats_dataIfEEEZNS1_11reduce_implILb1ES3_PS6_S9_S6_23summary_stats_binary_opIfEEE10hipError_tPvRmT1_T2_T3_mT4_P12ihipStream_tbEUlT_E1_NS1_11comp_targetILNS1_3genE4ELNS1_11target_archE910ELNS1_3gpuE8ELNS1_3repE0EEENS1_30default_config_static_selectorELNS0_4arch9wavefront6targetE0EEEvSF_.has_dyn_sized_stack, 0
	.set _ZN7rocprim17ROCPRIM_400000_NS6detail17trampoline_kernelINS0_14default_configENS1_22reduce_config_selectorI18summary_stats_dataIfEEEZNS1_11reduce_implILb1ES3_PS6_S9_S6_23summary_stats_binary_opIfEEE10hipError_tPvRmT1_T2_T3_mT4_P12ihipStream_tbEUlT_E1_NS1_11comp_targetILNS1_3genE4ELNS1_11target_archE910ELNS1_3gpuE8ELNS1_3repE0EEENS1_30default_config_static_selectorELNS0_4arch9wavefront6targetE0EEEvSF_.has_recursion, 0
	.set _ZN7rocprim17ROCPRIM_400000_NS6detail17trampoline_kernelINS0_14default_configENS1_22reduce_config_selectorI18summary_stats_dataIfEEEZNS1_11reduce_implILb1ES3_PS6_S9_S6_23summary_stats_binary_opIfEEE10hipError_tPvRmT1_T2_T3_mT4_P12ihipStream_tbEUlT_E1_NS1_11comp_targetILNS1_3genE4ELNS1_11target_archE910ELNS1_3gpuE8ELNS1_3repE0EEENS1_30default_config_static_selectorELNS0_4arch9wavefront6targetE0EEEvSF_.has_indirect_call, 0
	.section	.AMDGPU.csdata,"",@progbits
; Kernel info:
; codeLenInByte = 0
; TotalNumSgprs: 0
; NumVgprs: 0
; ScratchSize: 0
; MemoryBound: 0
; FloatMode: 240
; IeeeMode: 1
; LDSByteSize: 0 bytes/workgroup (compile time only)
; SGPRBlocks: 0
; VGPRBlocks: 0
; NumSGPRsForWavesPerEU: 1
; NumVGPRsForWavesPerEU: 1
; NamedBarCnt: 0
; Occupancy: 16
; WaveLimiterHint : 0
; COMPUTE_PGM_RSRC2:SCRATCH_EN: 0
; COMPUTE_PGM_RSRC2:USER_SGPR: 2
; COMPUTE_PGM_RSRC2:TRAP_HANDLER: 0
; COMPUTE_PGM_RSRC2:TGID_X_EN: 1
; COMPUTE_PGM_RSRC2:TGID_Y_EN: 0
; COMPUTE_PGM_RSRC2:TGID_Z_EN: 0
; COMPUTE_PGM_RSRC2:TIDIG_COMP_CNT: 0
	.section	.text._ZN7rocprim17ROCPRIM_400000_NS6detail17trampoline_kernelINS0_14default_configENS1_22reduce_config_selectorI18summary_stats_dataIfEEEZNS1_11reduce_implILb1ES3_PS6_S9_S6_23summary_stats_binary_opIfEEE10hipError_tPvRmT1_T2_T3_mT4_P12ihipStream_tbEUlT_E1_NS1_11comp_targetILNS1_3genE3ELNS1_11target_archE908ELNS1_3gpuE7ELNS1_3repE0EEENS1_30default_config_static_selectorELNS0_4arch9wavefront6targetE0EEEvSF_,"axG",@progbits,_ZN7rocprim17ROCPRIM_400000_NS6detail17trampoline_kernelINS0_14default_configENS1_22reduce_config_selectorI18summary_stats_dataIfEEEZNS1_11reduce_implILb1ES3_PS6_S9_S6_23summary_stats_binary_opIfEEE10hipError_tPvRmT1_T2_T3_mT4_P12ihipStream_tbEUlT_E1_NS1_11comp_targetILNS1_3genE3ELNS1_11target_archE908ELNS1_3gpuE7ELNS1_3repE0EEENS1_30default_config_static_selectorELNS0_4arch9wavefront6targetE0EEEvSF_,comdat
	.protected	_ZN7rocprim17ROCPRIM_400000_NS6detail17trampoline_kernelINS0_14default_configENS1_22reduce_config_selectorI18summary_stats_dataIfEEEZNS1_11reduce_implILb1ES3_PS6_S9_S6_23summary_stats_binary_opIfEEE10hipError_tPvRmT1_T2_T3_mT4_P12ihipStream_tbEUlT_E1_NS1_11comp_targetILNS1_3genE3ELNS1_11target_archE908ELNS1_3gpuE7ELNS1_3repE0EEENS1_30default_config_static_selectorELNS0_4arch9wavefront6targetE0EEEvSF_ ; -- Begin function _ZN7rocprim17ROCPRIM_400000_NS6detail17trampoline_kernelINS0_14default_configENS1_22reduce_config_selectorI18summary_stats_dataIfEEEZNS1_11reduce_implILb1ES3_PS6_S9_S6_23summary_stats_binary_opIfEEE10hipError_tPvRmT1_T2_T3_mT4_P12ihipStream_tbEUlT_E1_NS1_11comp_targetILNS1_3genE3ELNS1_11target_archE908ELNS1_3gpuE7ELNS1_3repE0EEENS1_30default_config_static_selectorELNS0_4arch9wavefront6targetE0EEEvSF_
	.globl	_ZN7rocprim17ROCPRIM_400000_NS6detail17trampoline_kernelINS0_14default_configENS1_22reduce_config_selectorI18summary_stats_dataIfEEEZNS1_11reduce_implILb1ES3_PS6_S9_S6_23summary_stats_binary_opIfEEE10hipError_tPvRmT1_T2_T3_mT4_P12ihipStream_tbEUlT_E1_NS1_11comp_targetILNS1_3genE3ELNS1_11target_archE908ELNS1_3gpuE7ELNS1_3repE0EEENS1_30default_config_static_selectorELNS0_4arch9wavefront6targetE0EEEvSF_
	.p2align	8
	.type	_ZN7rocprim17ROCPRIM_400000_NS6detail17trampoline_kernelINS0_14default_configENS1_22reduce_config_selectorI18summary_stats_dataIfEEEZNS1_11reduce_implILb1ES3_PS6_S9_S6_23summary_stats_binary_opIfEEE10hipError_tPvRmT1_T2_T3_mT4_P12ihipStream_tbEUlT_E1_NS1_11comp_targetILNS1_3genE3ELNS1_11target_archE908ELNS1_3gpuE7ELNS1_3repE0EEENS1_30default_config_static_selectorELNS0_4arch9wavefront6targetE0EEEvSF_,@function
_ZN7rocprim17ROCPRIM_400000_NS6detail17trampoline_kernelINS0_14default_configENS1_22reduce_config_selectorI18summary_stats_dataIfEEEZNS1_11reduce_implILb1ES3_PS6_S9_S6_23summary_stats_binary_opIfEEE10hipError_tPvRmT1_T2_T3_mT4_P12ihipStream_tbEUlT_E1_NS1_11comp_targetILNS1_3genE3ELNS1_11target_archE908ELNS1_3gpuE7ELNS1_3repE0EEENS1_30default_config_static_selectorELNS0_4arch9wavefront6targetE0EEEvSF_: ; @_ZN7rocprim17ROCPRIM_400000_NS6detail17trampoline_kernelINS0_14default_configENS1_22reduce_config_selectorI18summary_stats_dataIfEEEZNS1_11reduce_implILb1ES3_PS6_S9_S6_23summary_stats_binary_opIfEEE10hipError_tPvRmT1_T2_T3_mT4_P12ihipStream_tbEUlT_E1_NS1_11comp_targetILNS1_3genE3ELNS1_11target_archE908ELNS1_3gpuE7ELNS1_3repE0EEENS1_30default_config_static_selectorELNS0_4arch9wavefront6targetE0EEEvSF_
; %bb.0:
	.section	.rodata,"a",@progbits
	.p2align	6, 0x0
	.amdhsa_kernel _ZN7rocprim17ROCPRIM_400000_NS6detail17trampoline_kernelINS0_14default_configENS1_22reduce_config_selectorI18summary_stats_dataIfEEEZNS1_11reduce_implILb1ES3_PS6_S9_S6_23summary_stats_binary_opIfEEE10hipError_tPvRmT1_T2_T3_mT4_P12ihipStream_tbEUlT_E1_NS1_11comp_targetILNS1_3genE3ELNS1_11target_archE908ELNS1_3gpuE7ELNS1_3repE0EEENS1_30default_config_static_selectorELNS0_4arch9wavefront6targetE0EEEvSF_
		.amdhsa_group_segment_fixed_size 0
		.amdhsa_private_segment_fixed_size 0
		.amdhsa_kernarg_size 64
		.amdhsa_user_sgpr_count 2
		.amdhsa_user_sgpr_dispatch_ptr 0
		.amdhsa_user_sgpr_queue_ptr 0
		.amdhsa_user_sgpr_kernarg_segment_ptr 1
		.amdhsa_user_sgpr_dispatch_id 0
		.amdhsa_user_sgpr_kernarg_preload_length 0
		.amdhsa_user_sgpr_kernarg_preload_offset 0
		.amdhsa_user_sgpr_private_segment_size 0
		.amdhsa_wavefront_size32 1
		.amdhsa_uses_dynamic_stack 0
		.amdhsa_enable_private_segment 0
		.amdhsa_system_sgpr_workgroup_id_x 1
		.amdhsa_system_sgpr_workgroup_id_y 0
		.amdhsa_system_sgpr_workgroup_id_z 0
		.amdhsa_system_sgpr_workgroup_info 0
		.amdhsa_system_vgpr_workitem_id 0
		.amdhsa_next_free_vgpr 1
		.amdhsa_next_free_sgpr 1
		.amdhsa_named_barrier_count 0
		.amdhsa_reserve_vcc 0
		.amdhsa_float_round_mode_32 0
		.amdhsa_float_round_mode_16_64 0
		.amdhsa_float_denorm_mode_32 3
		.amdhsa_float_denorm_mode_16_64 3
		.amdhsa_fp16_overflow 0
		.amdhsa_memory_ordered 1
		.amdhsa_forward_progress 1
		.amdhsa_inst_pref_size 0
		.amdhsa_round_robin_scheduling 0
		.amdhsa_exception_fp_ieee_invalid_op 0
		.amdhsa_exception_fp_denorm_src 0
		.amdhsa_exception_fp_ieee_div_zero 0
		.amdhsa_exception_fp_ieee_overflow 0
		.amdhsa_exception_fp_ieee_underflow 0
		.amdhsa_exception_fp_ieee_inexact 0
		.amdhsa_exception_int_div_zero 0
	.end_amdhsa_kernel
	.section	.text._ZN7rocprim17ROCPRIM_400000_NS6detail17trampoline_kernelINS0_14default_configENS1_22reduce_config_selectorI18summary_stats_dataIfEEEZNS1_11reduce_implILb1ES3_PS6_S9_S6_23summary_stats_binary_opIfEEE10hipError_tPvRmT1_T2_T3_mT4_P12ihipStream_tbEUlT_E1_NS1_11comp_targetILNS1_3genE3ELNS1_11target_archE908ELNS1_3gpuE7ELNS1_3repE0EEENS1_30default_config_static_selectorELNS0_4arch9wavefront6targetE0EEEvSF_,"axG",@progbits,_ZN7rocprim17ROCPRIM_400000_NS6detail17trampoline_kernelINS0_14default_configENS1_22reduce_config_selectorI18summary_stats_dataIfEEEZNS1_11reduce_implILb1ES3_PS6_S9_S6_23summary_stats_binary_opIfEEE10hipError_tPvRmT1_T2_T3_mT4_P12ihipStream_tbEUlT_E1_NS1_11comp_targetILNS1_3genE3ELNS1_11target_archE908ELNS1_3gpuE7ELNS1_3repE0EEENS1_30default_config_static_selectorELNS0_4arch9wavefront6targetE0EEEvSF_,comdat
.Lfunc_end12:
	.size	_ZN7rocprim17ROCPRIM_400000_NS6detail17trampoline_kernelINS0_14default_configENS1_22reduce_config_selectorI18summary_stats_dataIfEEEZNS1_11reduce_implILb1ES3_PS6_S9_S6_23summary_stats_binary_opIfEEE10hipError_tPvRmT1_T2_T3_mT4_P12ihipStream_tbEUlT_E1_NS1_11comp_targetILNS1_3genE3ELNS1_11target_archE908ELNS1_3gpuE7ELNS1_3repE0EEENS1_30default_config_static_selectorELNS0_4arch9wavefront6targetE0EEEvSF_, .Lfunc_end12-_ZN7rocprim17ROCPRIM_400000_NS6detail17trampoline_kernelINS0_14default_configENS1_22reduce_config_selectorI18summary_stats_dataIfEEEZNS1_11reduce_implILb1ES3_PS6_S9_S6_23summary_stats_binary_opIfEEE10hipError_tPvRmT1_T2_T3_mT4_P12ihipStream_tbEUlT_E1_NS1_11comp_targetILNS1_3genE3ELNS1_11target_archE908ELNS1_3gpuE7ELNS1_3repE0EEENS1_30default_config_static_selectorELNS0_4arch9wavefront6targetE0EEEvSF_
                                        ; -- End function
	.set _ZN7rocprim17ROCPRIM_400000_NS6detail17trampoline_kernelINS0_14default_configENS1_22reduce_config_selectorI18summary_stats_dataIfEEEZNS1_11reduce_implILb1ES3_PS6_S9_S6_23summary_stats_binary_opIfEEE10hipError_tPvRmT1_T2_T3_mT4_P12ihipStream_tbEUlT_E1_NS1_11comp_targetILNS1_3genE3ELNS1_11target_archE908ELNS1_3gpuE7ELNS1_3repE0EEENS1_30default_config_static_selectorELNS0_4arch9wavefront6targetE0EEEvSF_.num_vgpr, 0
	.set _ZN7rocprim17ROCPRIM_400000_NS6detail17trampoline_kernelINS0_14default_configENS1_22reduce_config_selectorI18summary_stats_dataIfEEEZNS1_11reduce_implILb1ES3_PS6_S9_S6_23summary_stats_binary_opIfEEE10hipError_tPvRmT1_T2_T3_mT4_P12ihipStream_tbEUlT_E1_NS1_11comp_targetILNS1_3genE3ELNS1_11target_archE908ELNS1_3gpuE7ELNS1_3repE0EEENS1_30default_config_static_selectorELNS0_4arch9wavefront6targetE0EEEvSF_.num_agpr, 0
	.set _ZN7rocprim17ROCPRIM_400000_NS6detail17trampoline_kernelINS0_14default_configENS1_22reduce_config_selectorI18summary_stats_dataIfEEEZNS1_11reduce_implILb1ES3_PS6_S9_S6_23summary_stats_binary_opIfEEE10hipError_tPvRmT1_T2_T3_mT4_P12ihipStream_tbEUlT_E1_NS1_11comp_targetILNS1_3genE3ELNS1_11target_archE908ELNS1_3gpuE7ELNS1_3repE0EEENS1_30default_config_static_selectorELNS0_4arch9wavefront6targetE0EEEvSF_.numbered_sgpr, 0
	.set _ZN7rocprim17ROCPRIM_400000_NS6detail17trampoline_kernelINS0_14default_configENS1_22reduce_config_selectorI18summary_stats_dataIfEEEZNS1_11reduce_implILb1ES3_PS6_S9_S6_23summary_stats_binary_opIfEEE10hipError_tPvRmT1_T2_T3_mT4_P12ihipStream_tbEUlT_E1_NS1_11comp_targetILNS1_3genE3ELNS1_11target_archE908ELNS1_3gpuE7ELNS1_3repE0EEENS1_30default_config_static_selectorELNS0_4arch9wavefront6targetE0EEEvSF_.num_named_barrier, 0
	.set _ZN7rocprim17ROCPRIM_400000_NS6detail17trampoline_kernelINS0_14default_configENS1_22reduce_config_selectorI18summary_stats_dataIfEEEZNS1_11reduce_implILb1ES3_PS6_S9_S6_23summary_stats_binary_opIfEEE10hipError_tPvRmT1_T2_T3_mT4_P12ihipStream_tbEUlT_E1_NS1_11comp_targetILNS1_3genE3ELNS1_11target_archE908ELNS1_3gpuE7ELNS1_3repE0EEENS1_30default_config_static_selectorELNS0_4arch9wavefront6targetE0EEEvSF_.private_seg_size, 0
	.set _ZN7rocprim17ROCPRIM_400000_NS6detail17trampoline_kernelINS0_14default_configENS1_22reduce_config_selectorI18summary_stats_dataIfEEEZNS1_11reduce_implILb1ES3_PS6_S9_S6_23summary_stats_binary_opIfEEE10hipError_tPvRmT1_T2_T3_mT4_P12ihipStream_tbEUlT_E1_NS1_11comp_targetILNS1_3genE3ELNS1_11target_archE908ELNS1_3gpuE7ELNS1_3repE0EEENS1_30default_config_static_selectorELNS0_4arch9wavefront6targetE0EEEvSF_.uses_vcc, 0
	.set _ZN7rocprim17ROCPRIM_400000_NS6detail17trampoline_kernelINS0_14default_configENS1_22reduce_config_selectorI18summary_stats_dataIfEEEZNS1_11reduce_implILb1ES3_PS6_S9_S6_23summary_stats_binary_opIfEEE10hipError_tPvRmT1_T2_T3_mT4_P12ihipStream_tbEUlT_E1_NS1_11comp_targetILNS1_3genE3ELNS1_11target_archE908ELNS1_3gpuE7ELNS1_3repE0EEENS1_30default_config_static_selectorELNS0_4arch9wavefront6targetE0EEEvSF_.uses_flat_scratch, 0
	.set _ZN7rocprim17ROCPRIM_400000_NS6detail17trampoline_kernelINS0_14default_configENS1_22reduce_config_selectorI18summary_stats_dataIfEEEZNS1_11reduce_implILb1ES3_PS6_S9_S6_23summary_stats_binary_opIfEEE10hipError_tPvRmT1_T2_T3_mT4_P12ihipStream_tbEUlT_E1_NS1_11comp_targetILNS1_3genE3ELNS1_11target_archE908ELNS1_3gpuE7ELNS1_3repE0EEENS1_30default_config_static_selectorELNS0_4arch9wavefront6targetE0EEEvSF_.has_dyn_sized_stack, 0
	.set _ZN7rocprim17ROCPRIM_400000_NS6detail17trampoline_kernelINS0_14default_configENS1_22reduce_config_selectorI18summary_stats_dataIfEEEZNS1_11reduce_implILb1ES3_PS6_S9_S6_23summary_stats_binary_opIfEEE10hipError_tPvRmT1_T2_T3_mT4_P12ihipStream_tbEUlT_E1_NS1_11comp_targetILNS1_3genE3ELNS1_11target_archE908ELNS1_3gpuE7ELNS1_3repE0EEENS1_30default_config_static_selectorELNS0_4arch9wavefront6targetE0EEEvSF_.has_recursion, 0
	.set _ZN7rocprim17ROCPRIM_400000_NS6detail17trampoline_kernelINS0_14default_configENS1_22reduce_config_selectorI18summary_stats_dataIfEEEZNS1_11reduce_implILb1ES3_PS6_S9_S6_23summary_stats_binary_opIfEEE10hipError_tPvRmT1_T2_T3_mT4_P12ihipStream_tbEUlT_E1_NS1_11comp_targetILNS1_3genE3ELNS1_11target_archE908ELNS1_3gpuE7ELNS1_3repE0EEENS1_30default_config_static_selectorELNS0_4arch9wavefront6targetE0EEEvSF_.has_indirect_call, 0
	.section	.AMDGPU.csdata,"",@progbits
; Kernel info:
; codeLenInByte = 0
; TotalNumSgprs: 0
; NumVgprs: 0
; ScratchSize: 0
; MemoryBound: 0
; FloatMode: 240
; IeeeMode: 1
; LDSByteSize: 0 bytes/workgroup (compile time only)
; SGPRBlocks: 0
; VGPRBlocks: 0
; NumSGPRsForWavesPerEU: 1
; NumVGPRsForWavesPerEU: 1
; NamedBarCnt: 0
; Occupancy: 16
; WaveLimiterHint : 0
; COMPUTE_PGM_RSRC2:SCRATCH_EN: 0
; COMPUTE_PGM_RSRC2:USER_SGPR: 2
; COMPUTE_PGM_RSRC2:TRAP_HANDLER: 0
; COMPUTE_PGM_RSRC2:TGID_X_EN: 1
; COMPUTE_PGM_RSRC2:TGID_Y_EN: 0
; COMPUTE_PGM_RSRC2:TGID_Z_EN: 0
; COMPUTE_PGM_RSRC2:TIDIG_COMP_CNT: 0
	.section	.text._ZN7rocprim17ROCPRIM_400000_NS6detail17trampoline_kernelINS0_14default_configENS1_22reduce_config_selectorI18summary_stats_dataIfEEEZNS1_11reduce_implILb1ES3_PS6_S9_S6_23summary_stats_binary_opIfEEE10hipError_tPvRmT1_T2_T3_mT4_P12ihipStream_tbEUlT_E1_NS1_11comp_targetILNS1_3genE2ELNS1_11target_archE906ELNS1_3gpuE6ELNS1_3repE0EEENS1_30default_config_static_selectorELNS0_4arch9wavefront6targetE0EEEvSF_,"axG",@progbits,_ZN7rocprim17ROCPRIM_400000_NS6detail17trampoline_kernelINS0_14default_configENS1_22reduce_config_selectorI18summary_stats_dataIfEEEZNS1_11reduce_implILb1ES3_PS6_S9_S6_23summary_stats_binary_opIfEEE10hipError_tPvRmT1_T2_T3_mT4_P12ihipStream_tbEUlT_E1_NS1_11comp_targetILNS1_3genE2ELNS1_11target_archE906ELNS1_3gpuE6ELNS1_3repE0EEENS1_30default_config_static_selectorELNS0_4arch9wavefront6targetE0EEEvSF_,comdat
	.protected	_ZN7rocprim17ROCPRIM_400000_NS6detail17trampoline_kernelINS0_14default_configENS1_22reduce_config_selectorI18summary_stats_dataIfEEEZNS1_11reduce_implILb1ES3_PS6_S9_S6_23summary_stats_binary_opIfEEE10hipError_tPvRmT1_T2_T3_mT4_P12ihipStream_tbEUlT_E1_NS1_11comp_targetILNS1_3genE2ELNS1_11target_archE906ELNS1_3gpuE6ELNS1_3repE0EEENS1_30default_config_static_selectorELNS0_4arch9wavefront6targetE0EEEvSF_ ; -- Begin function _ZN7rocprim17ROCPRIM_400000_NS6detail17trampoline_kernelINS0_14default_configENS1_22reduce_config_selectorI18summary_stats_dataIfEEEZNS1_11reduce_implILb1ES3_PS6_S9_S6_23summary_stats_binary_opIfEEE10hipError_tPvRmT1_T2_T3_mT4_P12ihipStream_tbEUlT_E1_NS1_11comp_targetILNS1_3genE2ELNS1_11target_archE906ELNS1_3gpuE6ELNS1_3repE0EEENS1_30default_config_static_selectorELNS0_4arch9wavefront6targetE0EEEvSF_
	.globl	_ZN7rocprim17ROCPRIM_400000_NS6detail17trampoline_kernelINS0_14default_configENS1_22reduce_config_selectorI18summary_stats_dataIfEEEZNS1_11reduce_implILb1ES3_PS6_S9_S6_23summary_stats_binary_opIfEEE10hipError_tPvRmT1_T2_T3_mT4_P12ihipStream_tbEUlT_E1_NS1_11comp_targetILNS1_3genE2ELNS1_11target_archE906ELNS1_3gpuE6ELNS1_3repE0EEENS1_30default_config_static_selectorELNS0_4arch9wavefront6targetE0EEEvSF_
	.p2align	8
	.type	_ZN7rocprim17ROCPRIM_400000_NS6detail17trampoline_kernelINS0_14default_configENS1_22reduce_config_selectorI18summary_stats_dataIfEEEZNS1_11reduce_implILb1ES3_PS6_S9_S6_23summary_stats_binary_opIfEEE10hipError_tPvRmT1_T2_T3_mT4_P12ihipStream_tbEUlT_E1_NS1_11comp_targetILNS1_3genE2ELNS1_11target_archE906ELNS1_3gpuE6ELNS1_3repE0EEENS1_30default_config_static_selectorELNS0_4arch9wavefront6targetE0EEEvSF_,@function
_ZN7rocprim17ROCPRIM_400000_NS6detail17trampoline_kernelINS0_14default_configENS1_22reduce_config_selectorI18summary_stats_dataIfEEEZNS1_11reduce_implILb1ES3_PS6_S9_S6_23summary_stats_binary_opIfEEE10hipError_tPvRmT1_T2_T3_mT4_P12ihipStream_tbEUlT_E1_NS1_11comp_targetILNS1_3genE2ELNS1_11target_archE906ELNS1_3gpuE6ELNS1_3repE0EEENS1_30default_config_static_selectorELNS0_4arch9wavefront6targetE0EEEvSF_: ; @_ZN7rocprim17ROCPRIM_400000_NS6detail17trampoline_kernelINS0_14default_configENS1_22reduce_config_selectorI18summary_stats_dataIfEEEZNS1_11reduce_implILb1ES3_PS6_S9_S6_23summary_stats_binary_opIfEEE10hipError_tPvRmT1_T2_T3_mT4_P12ihipStream_tbEUlT_E1_NS1_11comp_targetILNS1_3genE2ELNS1_11target_archE906ELNS1_3gpuE6ELNS1_3repE0EEENS1_30default_config_static_selectorELNS0_4arch9wavefront6targetE0EEEvSF_
; %bb.0:
	.section	.rodata,"a",@progbits
	.p2align	6, 0x0
	.amdhsa_kernel _ZN7rocprim17ROCPRIM_400000_NS6detail17trampoline_kernelINS0_14default_configENS1_22reduce_config_selectorI18summary_stats_dataIfEEEZNS1_11reduce_implILb1ES3_PS6_S9_S6_23summary_stats_binary_opIfEEE10hipError_tPvRmT1_T2_T3_mT4_P12ihipStream_tbEUlT_E1_NS1_11comp_targetILNS1_3genE2ELNS1_11target_archE906ELNS1_3gpuE6ELNS1_3repE0EEENS1_30default_config_static_selectorELNS0_4arch9wavefront6targetE0EEEvSF_
		.amdhsa_group_segment_fixed_size 0
		.amdhsa_private_segment_fixed_size 0
		.amdhsa_kernarg_size 64
		.amdhsa_user_sgpr_count 2
		.amdhsa_user_sgpr_dispatch_ptr 0
		.amdhsa_user_sgpr_queue_ptr 0
		.amdhsa_user_sgpr_kernarg_segment_ptr 1
		.amdhsa_user_sgpr_dispatch_id 0
		.amdhsa_user_sgpr_kernarg_preload_length 0
		.amdhsa_user_sgpr_kernarg_preload_offset 0
		.amdhsa_user_sgpr_private_segment_size 0
		.amdhsa_wavefront_size32 1
		.amdhsa_uses_dynamic_stack 0
		.amdhsa_enable_private_segment 0
		.amdhsa_system_sgpr_workgroup_id_x 1
		.amdhsa_system_sgpr_workgroup_id_y 0
		.amdhsa_system_sgpr_workgroup_id_z 0
		.amdhsa_system_sgpr_workgroup_info 0
		.amdhsa_system_vgpr_workitem_id 0
		.amdhsa_next_free_vgpr 1
		.amdhsa_next_free_sgpr 1
		.amdhsa_named_barrier_count 0
		.amdhsa_reserve_vcc 0
		.amdhsa_float_round_mode_32 0
		.amdhsa_float_round_mode_16_64 0
		.amdhsa_float_denorm_mode_32 3
		.amdhsa_float_denorm_mode_16_64 3
		.amdhsa_fp16_overflow 0
		.amdhsa_memory_ordered 1
		.amdhsa_forward_progress 1
		.amdhsa_inst_pref_size 0
		.amdhsa_round_robin_scheduling 0
		.amdhsa_exception_fp_ieee_invalid_op 0
		.amdhsa_exception_fp_denorm_src 0
		.amdhsa_exception_fp_ieee_div_zero 0
		.amdhsa_exception_fp_ieee_overflow 0
		.amdhsa_exception_fp_ieee_underflow 0
		.amdhsa_exception_fp_ieee_inexact 0
		.amdhsa_exception_int_div_zero 0
	.end_amdhsa_kernel
	.section	.text._ZN7rocprim17ROCPRIM_400000_NS6detail17trampoline_kernelINS0_14default_configENS1_22reduce_config_selectorI18summary_stats_dataIfEEEZNS1_11reduce_implILb1ES3_PS6_S9_S6_23summary_stats_binary_opIfEEE10hipError_tPvRmT1_T2_T3_mT4_P12ihipStream_tbEUlT_E1_NS1_11comp_targetILNS1_3genE2ELNS1_11target_archE906ELNS1_3gpuE6ELNS1_3repE0EEENS1_30default_config_static_selectorELNS0_4arch9wavefront6targetE0EEEvSF_,"axG",@progbits,_ZN7rocprim17ROCPRIM_400000_NS6detail17trampoline_kernelINS0_14default_configENS1_22reduce_config_selectorI18summary_stats_dataIfEEEZNS1_11reduce_implILb1ES3_PS6_S9_S6_23summary_stats_binary_opIfEEE10hipError_tPvRmT1_T2_T3_mT4_P12ihipStream_tbEUlT_E1_NS1_11comp_targetILNS1_3genE2ELNS1_11target_archE906ELNS1_3gpuE6ELNS1_3repE0EEENS1_30default_config_static_selectorELNS0_4arch9wavefront6targetE0EEEvSF_,comdat
.Lfunc_end13:
	.size	_ZN7rocprim17ROCPRIM_400000_NS6detail17trampoline_kernelINS0_14default_configENS1_22reduce_config_selectorI18summary_stats_dataIfEEEZNS1_11reduce_implILb1ES3_PS6_S9_S6_23summary_stats_binary_opIfEEE10hipError_tPvRmT1_T2_T3_mT4_P12ihipStream_tbEUlT_E1_NS1_11comp_targetILNS1_3genE2ELNS1_11target_archE906ELNS1_3gpuE6ELNS1_3repE0EEENS1_30default_config_static_selectorELNS0_4arch9wavefront6targetE0EEEvSF_, .Lfunc_end13-_ZN7rocprim17ROCPRIM_400000_NS6detail17trampoline_kernelINS0_14default_configENS1_22reduce_config_selectorI18summary_stats_dataIfEEEZNS1_11reduce_implILb1ES3_PS6_S9_S6_23summary_stats_binary_opIfEEE10hipError_tPvRmT1_T2_T3_mT4_P12ihipStream_tbEUlT_E1_NS1_11comp_targetILNS1_3genE2ELNS1_11target_archE906ELNS1_3gpuE6ELNS1_3repE0EEENS1_30default_config_static_selectorELNS0_4arch9wavefront6targetE0EEEvSF_
                                        ; -- End function
	.set _ZN7rocprim17ROCPRIM_400000_NS6detail17trampoline_kernelINS0_14default_configENS1_22reduce_config_selectorI18summary_stats_dataIfEEEZNS1_11reduce_implILb1ES3_PS6_S9_S6_23summary_stats_binary_opIfEEE10hipError_tPvRmT1_T2_T3_mT4_P12ihipStream_tbEUlT_E1_NS1_11comp_targetILNS1_3genE2ELNS1_11target_archE906ELNS1_3gpuE6ELNS1_3repE0EEENS1_30default_config_static_selectorELNS0_4arch9wavefront6targetE0EEEvSF_.num_vgpr, 0
	.set _ZN7rocprim17ROCPRIM_400000_NS6detail17trampoline_kernelINS0_14default_configENS1_22reduce_config_selectorI18summary_stats_dataIfEEEZNS1_11reduce_implILb1ES3_PS6_S9_S6_23summary_stats_binary_opIfEEE10hipError_tPvRmT1_T2_T3_mT4_P12ihipStream_tbEUlT_E1_NS1_11comp_targetILNS1_3genE2ELNS1_11target_archE906ELNS1_3gpuE6ELNS1_3repE0EEENS1_30default_config_static_selectorELNS0_4arch9wavefront6targetE0EEEvSF_.num_agpr, 0
	.set _ZN7rocprim17ROCPRIM_400000_NS6detail17trampoline_kernelINS0_14default_configENS1_22reduce_config_selectorI18summary_stats_dataIfEEEZNS1_11reduce_implILb1ES3_PS6_S9_S6_23summary_stats_binary_opIfEEE10hipError_tPvRmT1_T2_T3_mT4_P12ihipStream_tbEUlT_E1_NS1_11comp_targetILNS1_3genE2ELNS1_11target_archE906ELNS1_3gpuE6ELNS1_3repE0EEENS1_30default_config_static_selectorELNS0_4arch9wavefront6targetE0EEEvSF_.numbered_sgpr, 0
	.set _ZN7rocprim17ROCPRIM_400000_NS6detail17trampoline_kernelINS0_14default_configENS1_22reduce_config_selectorI18summary_stats_dataIfEEEZNS1_11reduce_implILb1ES3_PS6_S9_S6_23summary_stats_binary_opIfEEE10hipError_tPvRmT1_T2_T3_mT4_P12ihipStream_tbEUlT_E1_NS1_11comp_targetILNS1_3genE2ELNS1_11target_archE906ELNS1_3gpuE6ELNS1_3repE0EEENS1_30default_config_static_selectorELNS0_4arch9wavefront6targetE0EEEvSF_.num_named_barrier, 0
	.set _ZN7rocprim17ROCPRIM_400000_NS6detail17trampoline_kernelINS0_14default_configENS1_22reduce_config_selectorI18summary_stats_dataIfEEEZNS1_11reduce_implILb1ES3_PS6_S9_S6_23summary_stats_binary_opIfEEE10hipError_tPvRmT1_T2_T3_mT4_P12ihipStream_tbEUlT_E1_NS1_11comp_targetILNS1_3genE2ELNS1_11target_archE906ELNS1_3gpuE6ELNS1_3repE0EEENS1_30default_config_static_selectorELNS0_4arch9wavefront6targetE0EEEvSF_.private_seg_size, 0
	.set _ZN7rocprim17ROCPRIM_400000_NS6detail17trampoline_kernelINS0_14default_configENS1_22reduce_config_selectorI18summary_stats_dataIfEEEZNS1_11reduce_implILb1ES3_PS6_S9_S6_23summary_stats_binary_opIfEEE10hipError_tPvRmT1_T2_T3_mT4_P12ihipStream_tbEUlT_E1_NS1_11comp_targetILNS1_3genE2ELNS1_11target_archE906ELNS1_3gpuE6ELNS1_3repE0EEENS1_30default_config_static_selectorELNS0_4arch9wavefront6targetE0EEEvSF_.uses_vcc, 0
	.set _ZN7rocprim17ROCPRIM_400000_NS6detail17trampoline_kernelINS0_14default_configENS1_22reduce_config_selectorI18summary_stats_dataIfEEEZNS1_11reduce_implILb1ES3_PS6_S9_S6_23summary_stats_binary_opIfEEE10hipError_tPvRmT1_T2_T3_mT4_P12ihipStream_tbEUlT_E1_NS1_11comp_targetILNS1_3genE2ELNS1_11target_archE906ELNS1_3gpuE6ELNS1_3repE0EEENS1_30default_config_static_selectorELNS0_4arch9wavefront6targetE0EEEvSF_.uses_flat_scratch, 0
	.set _ZN7rocprim17ROCPRIM_400000_NS6detail17trampoline_kernelINS0_14default_configENS1_22reduce_config_selectorI18summary_stats_dataIfEEEZNS1_11reduce_implILb1ES3_PS6_S9_S6_23summary_stats_binary_opIfEEE10hipError_tPvRmT1_T2_T3_mT4_P12ihipStream_tbEUlT_E1_NS1_11comp_targetILNS1_3genE2ELNS1_11target_archE906ELNS1_3gpuE6ELNS1_3repE0EEENS1_30default_config_static_selectorELNS0_4arch9wavefront6targetE0EEEvSF_.has_dyn_sized_stack, 0
	.set _ZN7rocprim17ROCPRIM_400000_NS6detail17trampoline_kernelINS0_14default_configENS1_22reduce_config_selectorI18summary_stats_dataIfEEEZNS1_11reduce_implILb1ES3_PS6_S9_S6_23summary_stats_binary_opIfEEE10hipError_tPvRmT1_T2_T3_mT4_P12ihipStream_tbEUlT_E1_NS1_11comp_targetILNS1_3genE2ELNS1_11target_archE906ELNS1_3gpuE6ELNS1_3repE0EEENS1_30default_config_static_selectorELNS0_4arch9wavefront6targetE0EEEvSF_.has_recursion, 0
	.set _ZN7rocprim17ROCPRIM_400000_NS6detail17trampoline_kernelINS0_14default_configENS1_22reduce_config_selectorI18summary_stats_dataIfEEEZNS1_11reduce_implILb1ES3_PS6_S9_S6_23summary_stats_binary_opIfEEE10hipError_tPvRmT1_T2_T3_mT4_P12ihipStream_tbEUlT_E1_NS1_11comp_targetILNS1_3genE2ELNS1_11target_archE906ELNS1_3gpuE6ELNS1_3repE0EEENS1_30default_config_static_selectorELNS0_4arch9wavefront6targetE0EEEvSF_.has_indirect_call, 0
	.section	.AMDGPU.csdata,"",@progbits
; Kernel info:
; codeLenInByte = 0
; TotalNumSgprs: 0
; NumVgprs: 0
; ScratchSize: 0
; MemoryBound: 0
; FloatMode: 240
; IeeeMode: 1
; LDSByteSize: 0 bytes/workgroup (compile time only)
; SGPRBlocks: 0
; VGPRBlocks: 0
; NumSGPRsForWavesPerEU: 1
; NumVGPRsForWavesPerEU: 1
; NamedBarCnt: 0
; Occupancy: 16
; WaveLimiterHint : 0
; COMPUTE_PGM_RSRC2:SCRATCH_EN: 0
; COMPUTE_PGM_RSRC2:USER_SGPR: 2
; COMPUTE_PGM_RSRC2:TRAP_HANDLER: 0
; COMPUTE_PGM_RSRC2:TGID_X_EN: 1
; COMPUTE_PGM_RSRC2:TGID_Y_EN: 0
; COMPUTE_PGM_RSRC2:TGID_Z_EN: 0
; COMPUTE_PGM_RSRC2:TIDIG_COMP_CNT: 0
	.section	.text._ZN7rocprim17ROCPRIM_400000_NS6detail17trampoline_kernelINS0_14default_configENS1_22reduce_config_selectorI18summary_stats_dataIfEEEZNS1_11reduce_implILb1ES3_PS6_S9_S6_23summary_stats_binary_opIfEEE10hipError_tPvRmT1_T2_T3_mT4_P12ihipStream_tbEUlT_E1_NS1_11comp_targetILNS1_3genE10ELNS1_11target_archE1201ELNS1_3gpuE5ELNS1_3repE0EEENS1_30default_config_static_selectorELNS0_4arch9wavefront6targetE0EEEvSF_,"axG",@progbits,_ZN7rocprim17ROCPRIM_400000_NS6detail17trampoline_kernelINS0_14default_configENS1_22reduce_config_selectorI18summary_stats_dataIfEEEZNS1_11reduce_implILb1ES3_PS6_S9_S6_23summary_stats_binary_opIfEEE10hipError_tPvRmT1_T2_T3_mT4_P12ihipStream_tbEUlT_E1_NS1_11comp_targetILNS1_3genE10ELNS1_11target_archE1201ELNS1_3gpuE5ELNS1_3repE0EEENS1_30default_config_static_selectorELNS0_4arch9wavefront6targetE0EEEvSF_,comdat
	.protected	_ZN7rocprim17ROCPRIM_400000_NS6detail17trampoline_kernelINS0_14default_configENS1_22reduce_config_selectorI18summary_stats_dataIfEEEZNS1_11reduce_implILb1ES3_PS6_S9_S6_23summary_stats_binary_opIfEEE10hipError_tPvRmT1_T2_T3_mT4_P12ihipStream_tbEUlT_E1_NS1_11comp_targetILNS1_3genE10ELNS1_11target_archE1201ELNS1_3gpuE5ELNS1_3repE0EEENS1_30default_config_static_selectorELNS0_4arch9wavefront6targetE0EEEvSF_ ; -- Begin function _ZN7rocprim17ROCPRIM_400000_NS6detail17trampoline_kernelINS0_14default_configENS1_22reduce_config_selectorI18summary_stats_dataIfEEEZNS1_11reduce_implILb1ES3_PS6_S9_S6_23summary_stats_binary_opIfEEE10hipError_tPvRmT1_T2_T3_mT4_P12ihipStream_tbEUlT_E1_NS1_11comp_targetILNS1_3genE10ELNS1_11target_archE1201ELNS1_3gpuE5ELNS1_3repE0EEENS1_30default_config_static_selectorELNS0_4arch9wavefront6targetE0EEEvSF_
	.globl	_ZN7rocprim17ROCPRIM_400000_NS6detail17trampoline_kernelINS0_14default_configENS1_22reduce_config_selectorI18summary_stats_dataIfEEEZNS1_11reduce_implILb1ES3_PS6_S9_S6_23summary_stats_binary_opIfEEE10hipError_tPvRmT1_T2_T3_mT4_P12ihipStream_tbEUlT_E1_NS1_11comp_targetILNS1_3genE10ELNS1_11target_archE1201ELNS1_3gpuE5ELNS1_3repE0EEENS1_30default_config_static_selectorELNS0_4arch9wavefront6targetE0EEEvSF_
	.p2align	8
	.type	_ZN7rocprim17ROCPRIM_400000_NS6detail17trampoline_kernelINS0_14default_configENS1_22reduce_config_selectorI18summary_stats_dataIfEEEZNS1_11reduce_implILb1ES3_PS6_S9_S6_23summary_stats_binary_opIfEEE10hipError_tPvRmT1_T2_T3_mT4_P12ihipStream_tbEUlT_E1_NS1_11comp_targetILNS1_3genE10ELNS1_11target_archE1201ELNS1_3gpuE5ELNS1_3repE0EEENS1_30default_config_static_selectorELNS0_4arch9wavefront6targetE0EEEvSF_,@function
_ZN7rocprim17ROCPRIM_400000_NS6detail17trampoline_kernelINS0_14default_configENS1_22reduce_config_selectorI18summary_stats_dataIfEEEZNS1_11reduce_implILb1ES3_PS6_S9_S6_23summary_stats_binary_opIfEEE10hipError_tPvRmT1_T2_T3_mT4_P12ihipStream_tbEUlT_E1_NS1_11comp_targetILNS1_3genE10ELNS1_11target_archE1201ELNS1_3gpuE5ELNS1_3repE0EEENS1_30default_config_static_selectorELNS0_4arch9wavefront6targetE0EEEvSF_: ; @_ZN7rocprim17ROCPRIM_400000_NS6detail17trampoline_kernelINS0_14default_configENS1_22reduce_config_selectorI18summary_stats_dataIfEEEZNS1_11reduce_implILb1ES3_PS6_S9_S6_23summary_stats_binary_opIfEEE10hipError_tPvRmT1_T2_T3_mT4_P12ihipStream_tbEUlT_E1_NS1_11comp_targetILNS1_3genE10ELNS1_11target_archE1201ELNS1_3gpuE5ELNS1_3repE0EEENS1_30default_config_static_selectorELNS0_4arch9wavefront6targetE0EEEvSF_
; %bb.0:
	.section	.rodata,"a",@progbits
	.p2align	6, 0x0
	.amdhsa_kernel _ZN7rocprim17ROCPRIM_400000_NS6detail17trampoline_kernelINS0_14default_configENS1_22reduce_config_selectorI18summary_stats_dataIfEEEZNS1_11reduce_implILb1ES3_PS6_S9_S6_23summary_stats_binary_opIfEEE10hipError_tPvRmT1_T2_T3_mT4_P12ihipStream_tbEUlT_E1_NS1_11comp_targetILNS1_3genE10ELNS1_11target_archE1201ELNS1_3gpuE5ELNS1_3repE0EEENS1_30default_config_static_selectorELNS0_4arch9wavefront6targetE0EEEvSF_
		.amdhsa_group_segment_fixed_size 0
		.amdhsa_private_segment_fixed_size 0
		.amdhsa_kernarg_size 64
		.amdhsa_user_sgpr_count 2
		.amdhsa_user_sgpr_dispatch_ptr 0
		.amdhsa_user_sgpr_queue_ptr 0
		.amdhsa_user_sgpr_kernarg_segment_ptr 1
		.amdhsa_user_sgpr_dispatch_id 0
		.amdhsa_user_sgpr_kernarg_preload_length 0
		.amdhsa_user_sgpr_kernarg_preload_offset 0
		.amdhsa_user_sgpr_private_segment_size 0
		.amdhsa_wavefront_size32 1
		.amdhsa_uses_dynamic_stack 0
		.amdhsa_enable_private_segment 0
		.amdhsa_system_sgpr_workgroup_id_x 1
		.amdhsa_system_sgpr_workgroup_id_y 0
		.amdhsa_system_sgpr_workgroup_id_z 0
		.amdhsa_system_sgpr_workgroup_info 0
		.amdhsa_system_vgpr_workitem_id 0
		.amdhsa_next_free_vgpr 1
		.amdhsa_next_free_sgpr 1
		.amdhsa_named_barrier_count 0
		.amdhsa_reserve_vcc 0
		.amdhsa_float_round_mode_32 0
		.amdhsa_float_round_mode_16_64 0
		.amdhsa_float_denorm_mode_32 3
		.amdhsa_float_denorm_mode_16_64 3
		.amdhsa_fp16_overflow 0
		.amdhsa_memory_ordered 1
		.amdhsa_forward_progress 1
		.amdhsa_inst_pref_size 0
		.amdhsa_round_robin_scheduling 0
		.amdhsa_exception_fp_ieee_invalid_op 0
		.amdhsa_exception_fp_denorm_src 0
		.amdhsa_exception_fp_ieee_div_zero 0
		.amdhsa_exception_fp_ieee_overflow 0
		.amdhsa_exception_fp_ieee_underflow 0
		.amdhsa_exception_fp_ieee_inexact 0
		.amdhsa_exception_int_div_zero 0
	.end_amdhsa_kernel
	.section	.text._ZN7rocprim17ROCPRIM_400000_NS6detail17trampoline_kernelINS0_14default_configENS1_22reduce_config_selectorI18summary_stats_dataIfEEEZNS1_11reduce_implILb1ES3_PS6_S9_S6_23summary_stats_binary_opIfEEE10hipError_tPvRmT1_T2_T3_mT4_P12ihipStream_tbEUlT_E1_NS1_11comp_targetILNS1_3genE10ELNS1_11target_archE1201ELNS1_3gpuE5ELNS1_3repE0EEENS1_30default_config_static_selectorELNS0_4arch9wavefront6targetE0EEEvSF_,"axG",@progbits,_ZN7rocprim17ROCPRIM_400000_NS6detail17trampoline_kernelINS0_14default_configENS1_22reduce_config_selectorI18summary_stats_dataIfEEEZNS1_11reduce_implILb1ES3_PS6_S9_S6_23summary_stats_binary_opIfEEE10hipError_tPvRmT1_T2_T3_mT4_P12ihipStream_tbEUlT_E1_NS1_11comp_targetILNS1_3genE10ELNS1_11target_archE1201ELNS1_3gpuE5ELNS1_3repE0EEENS1_30default_config_static_selectorELNS0_4arch9wavefront6targetE0EEEvSF_,comdat
.Lfunc_end14:
	.size	_ZN7rocprim17ROCPRIM_400000_NS6detail17trampoline_kernelINS0_14default_configENS1_22reduce_config_selectorI18summary_stats_dataIfEEEZNS1_11reduce_implILb1ES3_PS6_S9_S6_23summary_stats_binary_opIfEEE10hipError_tPvRmT1_T2_T3_mT4_P12ihipStream_tbEUlT_E1_NS1_11comp_targetILNS1_3genE10ELNS1_11target_archE1201ELNS1_3gpuE5ELNS1_3repE0EEENS1_30default_config_static_selectorELNS0_4arch9wavefront6targetE0EEEvSF_, .Lfunc_end14-_ZN7rocprim17ROCPRIM_400000_NS6detail17trampoline_kernelINS0_14default_configENS1_22reduce_config_selectorI18summary_stats_dataIfEEEZNS1_11reduce_implILb1ES3_PS6_S9_S6_23summary_stats_binary_opIfEEE10hipError_tPvRmT1_T2_T3_mT4_P12ihipStream_tbEUlT_E1_NS1_11comp_targetILNS1_3genE10ELNS1_11target_archE1201ELNS1_3gpuE5ELNS1_3repE0EEENS1_30default_config_static_selectorELNS0_4arch9wavefront6targetE0EEEvSF_
                                        ; -- End function
	.set _ZN7rocprim17ROCPRIM_400000_NS6detail17trampoline_kernelINS0_14default_configENS1_22reduce_config_selectorI18summary_stats_dataIfEEEZNS1_11reduce_implILb1ES3_PS6_S9_S6_23summary_stats_binary_opIfEEE10hipError_tPvRmT1_T2_T3_mT4_P12ihipStream_tbEUlT_E1_NS1_11comp_targetILNS1_3genE10ELNS1_11target_archE1201ELNS1_3gpuE5ELNS1_3repE0EEENS1_30default_config_static_selectorELNS0_4arch9wavefront6targetE0EEEvSF_.num_vgpr, 0
	.set _ZN7rocprim17ROCPRIM_400000_NS6detail17trampoline_kernelINS0_14default_configENS1_22reduce_config_selectorI18summary_stats_dataIfEEEZNS1_11reduce_implILb1ES3_PS6_S9_S6_23summary_stats_binary_opIfEEE10hipError_tPvRmT1_T2_T3_mT4_P12ihipStream_tbEUlT_E1_NS1_11comp_targetILNS1_3genE10ELNS1_11target_archE1201ELNS1_3gpuE5ELNS1_3repE0EEENS1_30default_config_static_selectorELNS0_4arch9wavefront6targetE0EEEvSF_.num_agpr, 0
	.set _ZN7rocprim17ROCPRIM_400000_NS6detail17trampoline_kernelINS0_14default_configENS1_22reduce_config_selectorI18summary_stats_dataIfEEEZNS1_11reduce_implILb1ES3_PS6_S9_S6_23summary_stats_binary_opIfEEE10hipError_tPvRmT1_T2_T3_mT4_P12ihipStream_tbEUlT_E1_NS1_11comp_targetILNS1_3genE10ELNS1_11target_archE1201ELNS1_3gpuE5ELNS1_3repE0EEENS1_30default_config_static_selectorELNS0_4arch9wavefront6targetE0EEEvSF_.numbered_sgpr, 0
	.set _ZN7rocprim17ROCPRIM_400000_NS6detail17trampoline_kernelINS0_14default_configENS1_22reduce_config_selectorI18summary_stats_dataIfEEEZNS1_11reduce_implILb1ES3_PS6_S9_S6_23summary_stats_binary_opIfEEE10hipError_tPvRmT1_T2_T3_mT4_P12ihipStream_tbEUlT_E1_NS1_11comp_targetILNS1_3genE10ELNS1_11target_archE1201ELNS1_3gpuE5ELNS1_3repE0EEENS1_30default_config_static_selectorELNS0_4arch9wavefront6targetE0EEEvSF_.num_named_barrier, 0
	.set _ZN7rocprim17ROCPRIM_400000_NS6detail17trampoline_kernelINS0_14default_configENS1_22reduce_config_selectorI18summary_stats_dataIfEEEZNS1_11reduce_implILb1ES3_PS6_S9_S6_23summary_stats_binary_opIfEEE10hipError_tPvRmT1_T2_T3_mT4_P12ihipStream_tbEUlT_E1_NS1_11comp_targetILNS1_3genE10ELNS1_11target_archE1201ELNS1_3gpuE5ELNS1_3repE0EEENS1_30default_config_static_selectorELNS0_4arch9wavefront6targetE0EEEvSF_.private_seg_size, 0
	.set _ZN7rocprim17ROCPRIM_400000_NS6detail17trampoline_kernelINS0_14default_configENS1_22reduce_config_selectorI18summary_stats_dataIfEEEZNS1_11reduce_implILb1ES3_PS6_S9_S6_23summary_stats_binary_opIfEEE10hipError_tPvRmT1_T2_T3_mT4_P12ihipStream_tbEUlT_E1_NS1_11comp_targetILNS1_3genE10ELNS1_11target_archE1201ELNS1_3gpuE5ELNS1_3repE0EEENS1_30default_config_static_selectorELNS0_4arch9wavefront6targetE0EEEvSF_.uses_vcc, 0
	.set _ZN7rocprim17ROCPRIM_400000_NS6detail17trampoline_kernelINS0_14default_configENS1_22reduce_config_selectorI18summary_stats_dataIfEEEZNS1_11reduce_implILb1ES3_PS6_S9_S6_23summary_stats_binary_opIfEEE10hipError_tPvRmT1_T2_T3_mT4_P12ihipStream_tbEUlT_E1_NS1_11comp_targetILNS1_3genE10ELNS1_11target_archE1201ELNS1_3gpuE5ELNS1_3repE0EEENS1_30default_config_static_selectorELNS0_4arch9wavefront6targetE0EEEvSF_.uses_flat_scratch, 0
	.set _ZN7rocprim17ROCPRIM_400000_NS6detail17trampoline_kernelINS0_14default_configENS1_22reduce_config_selectorI18summary_stats_dataIfEEEZNS1_11reduce_implILb1ES3_PS6_S9_S6_23summary_stats_binary_opIfEEE10hipError_tPvRmT1_T2_T3_mT4_P12ihipStream_tbEUlT_E1_NS1_11comp_targetILNS1_3genE10ELNS1_11target_archE1201ELNS1_3gpuE5ELNS1_3repE0EEENS1_30default_config_static_selectorELNS0_4arch9wavefront6targetE0EEEvSF_.has_dyn_sized_stack, 0
	.set _ZN7rocprim17ROCPRIM_400000_NS6detail17trampoline_kernelINS0_14default_configENS1_22reduce_config_selectorI18summary_stats_dataIfEEEZNS1_11reduce_implILb1ES3_PS6_S9_S6_23summary_stats_binary_opIfEEE10hipError_tPvRmT1_T2_T3_mT4_P12ihipStream_tbEUlT_E1_NS1_11comp_targetILNS1_3genE10ELNS1_11target_archE1201ELNS1_3gpuE5ELNS1_3repE0EEENS1_30default_config_static_selectorELNS0_4arch9wavefront6targetE0EEEvSF_.has_recursion, 0
	.set _ZN7rocprim17ROCPRIM_400000_NS6detail17trampoline_kernelINS0_14default_configENS1_22reduce_config_selectorI18summary_stats_dataIfEEEZNS1_11reduce_implILb1ES3_PS6_S9_S6_23summary_stats_binary_opIfEEE10hipError_tPvRmT1_T2_T3_mT4_P12ihipStream_tbEUlT_E1_NS1_11comp_targetILNS1_3genE10ELNS1_11target_archE1201ELNS1_3gpuE5ELNS1_3repE0EEENS1_30default_config_static_selectorELNS0_4arch9wavefront6targetE0EEEvSF_.has_indirect_call, 0
	.section	.AMDGPU.csdata,"",@progbits
; Kernel info:
; codeLenInByte = 0
; TotalNumSgprs: 0
; NumVgprs: 0
; ScratchSize: 0
; MemoryBound: 0
; FloatMode: 240
; IeeeMode: 1
; LDSByteSize: 0 bytes/workgroup (compile time only)
; SGPRBlocks: 0
; VGPRBlocks: 0
; NumSGPRsForWavesPerEU: 1
; NumVGPRsForWavesPerEU: 1
; NamedBarCnt: 0
; Occupancy: 16
; WaveLimiterHint : 0
; COMPUTE_PGM_RSRC2:SCRATCH_EN: 0
; COMPUTE_PGM_RSRC2:USER_SGPR: 2
; COMPUTE_PGM_RSRC2:TRAP_HANDLER: 0
; COMPUTE_PGM_RSRC2:TGID_X_EN: 1
; COMPUTE_PGM_RSRC2:TGID_Y_EN: 0
; COMPUTE_PGM_RSRC2:TGID_Z_EN: 0
; COMPUTE_PGM_RSRC2:TIDIG_COMP_CNT: 0
	.section	.text._ZN7rocprim17ROCPRIM_400000_NS6detail17trampoline_kernelINS0_14default_configENS1_22reduce_config_selectorI18summary_stats_dataIfEEEZNS1_11reduce_implILb1ES3_PS6_S9_S6_23summary_stats_binary_opIfEEE10hipError_tPvRmT1_T2_T3_mT4_P12ihipStream_tbEUlT_E1_NS1_11comp_targetILNS1_3genE10ELNS1_11target_archE1200ELNS1_3gpuE4ELNS1_3repE0EEENS1_30default_config_static_selectorELNS0_4arch9wavefront6targetE0EEEvSF_,"axG",@progbits,_ZN7rocprim17ROCPRIM_400000_NS6detail17trampoline_kernelINS0_14default_configENS1_22reduce_config_selectorI18summary_stats_dataIfEEEZNS1_11reduce_implILb1ES3_PS6_S9_S6_23summary_stats_binary_opIfEEE10hipError_tPvRmT1_T2_T3_mT4_P12ihipStream_tbEUlT_E1_NS1_11comp_targetILNS1_3genE10ELNS1_11target_archE1200ELNS1_3gpuE4ELNS1_3repE0EEENS1_30default_config_static_selectorELNS0_4arch9wavefront6targetE0EEEvSF_,comdat
	.protected	_ZN7rocprim17ROCPRIM_400000_NS6detail17trampoline_kernelINS0_14default_configENS1_22reduce_config_selectorI18summary_stats_dataIfEEEZNS1_11reduce_implILb1ES3_PS6_S9_S6_23summary_stats_binary_opIfEEE10hipError_tPvRmT1_T2_T3_mT4_P12ihipStream_tbEUlT_E1_NS1_11comp_targetILNS1_3genE10ELNS1_11target_archE1200ELNS1_3gpuE4ELNS1_3repE0EEENS1_30default_config_static_selectorELNS0_4arch9wavefront6targetE0EEEvSF_ ; -- Begin function _ZN7rocprim17ROCPRIM_400000_NS6detail17trampoline_kernelINS0_14default_configENS1_22reduce_config_selectorI18summary_stats_dataIfEEEZNS1_11reduce_implILb1ES3_PS6_S9_S6_23summary_stats_binary_opIfEEE10hipError_tPvRmT1_T2_T3_mT4_P12ihipStream_tbEUlT_E1_NS1_11comp_targetILNS1_3genE10ELNS1_11target_archE1200ELNS1_3gpuE4ELNS1_3repE0EEENS1_30default_config_static_selectorELNS0_4arch9wavefront6targetE0EEEvSF_
	.globl	_ZN7rocprim17ROCPRIM_400000_NS6detail17trampoline_kernelINS0_14default_configENS1_22reduce_config_selectorI18summary_stats_dataIfEEEZNS1_11reduce_implILb1ES3_PS6_S9_S6_23summary_stats_binary_opIfEEE10hipError_tPvRmT1_T2_T3_mT4_P12ihipStream_tbEUlT_E1_NS1_11comp_targetILNS1_3genE10ELNS1_11target_archE1200ELNS1_3gpuE4ELNS1_3repE0EEENS1_30default_config_static_selectorELNS0_4arch9wavefront6targetE0EEEvSF_
	.p2align	8
	.type	_ZN7rocprim17ROCPRIM_400000_NS6detail17trampoline_kernelINS0_14default_configENS1_22reduce_config_selectorI18summary_stats_dataIfEEEZNS1_11reduce_implILb1ES3_PS6_S9_S6_23summary_stats_binary_opIfEEE10hipError_tPvRmT1_T2_T3_mT4_P12ihipStream_tbEUlT_E1_NS1_11comp_targetILNS1_3genE10ELNS1_11target_archE1200ELNS1_3gpuE4ELNS1_3repE0EEENS1_30default_config_static_selectorELNS0_4arch9wavefront6targetE0EEEvSF_,@function
_ZN7rocprim17ROCPRIM_400000_NS6detail17trampoline_kernelINS0_14default_configENS1_22reduce_config_selectorI18summary_stats_dataIfEEEZNS1_11reduce_implILb1ES3_PS6_S9_S6_23summary_stats_binary_opIfEEE10hipError_tPvRmT1_T2_T3_mT4_P12ihipStream_tbEUlT_E1_NS1_11comp_targetILNS1_3genE10ELNS1_11target_archE1200ELNS1_3gpuE4ELNS1_3repE0EEENS1_30default_config_static_selectorELNS0_4arch9wavefront6targetE0EEEvSF_: ; @_ZN7rocprim17ROCPRIM_400000_NS6detail17trampoline_kernelINS0_14default_configENS1_22reduce_config_selectorI18summary_stats_dataIfEEEZNS1_11reduce_implILb1ES3_PS6_S9_S6_23summary_stats_binary_opIfEEE10hipError_tPvRmT1_T2_T3_mT4_P12ihipStream_tbEUlT_E1_NS1_11comp_targetILNS1_3genE10ELNS1_11target_archE1200ELNS1_3gpuE4ELNS1_3repE0EEENS1_30default_config_static_selectorELNS0_4arch9wavefront6targetE0EEEvSF_
; %bb.0:
	.section	.rodata,"a",@progbits
	.p2align	6, 0x0
	.amdhsa_kernel _ZN7rocprim17ROCPRIM_400000_NS6detail17trampoline_kernelINS0_14default_configENS1_22reduce_config_selectorI18summary_stats_dataIfEEEZNS1_11reduce_implILb1ES3_PS6_S9_S6_23summary_stats_binary_opIfEEE10hipError_tPvRmT1_T2_T3_mT4_P12ihipStream_tbEUlT_E1_NS1_11comp_targetILNS1_3genE10ELNS1_11target_archE1200ELNS1_3gpuE4ELNS1_3repE0EEENS1_30default_config_static_selectorELNS0_4arch9wavefront6targetE0EEEvSF_
		.amdhsa_group_segment_fixed_size 0
		.amdhsa_private_segment_fixed_size 0
		.amdhsa_kernarg_size 64
		.amdhsa_user_sgpr_count 2
		.amdhsa_user_sgpr_dispatch_ptr 0
		.amdhsa_user_sgpr_queue_ptr 0
		.amdhsa_user_sgpr_kernarg_segment_ptr 1
		.amdhsa_user_sgpr_dispatch_id 0
		.amdhsa_user_sgpr_kernarg_preload_length 0
		.amdhsa_user_sgpr_kernarg_preload_offset 0
		.amdhsa_user_sgpr_private_segment_size 0
		.amdhsa_wavefront_size32 1
		.amdhsa_uses_dynamic_stack 0
		.amdhsa_enable_private_segment 0
		.amdhsa_system_sgpr_workgroup_id_x 1
		.amdhsa_system_sgpr_workgroup_id_y 0
		.amdhsa_system_sgpr_workgroup_id_z 0
		.amdhsa_system_sgpr_workgroup_info 0
		.amdhsa_system_vgpr_workitem_id 0
		.amdhsa_next_free_vgpr 1
		.amdhsa_next_free_sgpr 1
		.amdhsa_named_barrier_count 0
		.amdhsa_reserve_vcc 0
		.amdhsa_float_round_mode_32 0
		.amdhsa_float_round_mode_16_64 0
		.amdhsa_float_denorm_mode_32 3
		.amdhsa_float_denorm_mode_16_64 3
		.amdhsa_fp16_overflow 0
		.amdhsa_memory_ordered 1
		.amdhsa_forward_progress 1
		.amdhsa_inst_pref_size 0
		.amdhsa_round_robin_scheduling 0
		.amdhsa_exception_fp_ieee_invalid_op 0
		.amdhsa_exception_fp_denorm_src 0
		.amdhsa_exception_fp_ieee_div_zero 0
		.amdhsa_exception_fp_ieee_overflow 0
		.amdhsa_exception_fp_ieee_underflow 0
		.amdhsa_exception_fp_ieee_inexact 0
		.amdhsa_exception_int_div_zero 0
	.end_amdhsa_kernel
	.section	.text._ZN7rocprim17ROCPRIM_400000_NS6detail17trampoline_kernelINS0_14default_configENS1_22reduce_config_selectorI18summary_stats_dataIfEEEZNS1_11reduce_implILb1ES3_PS6_S9_S6_23summary_stats_binary_opIfEEE10hipError_tPvRmT1_T2_T3_mT4_P12ihipStream_tbEUlT_E1_NS1_11comp_targetILNS1_3genE10ELNS1_11target_archE1200ELNS1_3gpuE4ELNS1_3repE0EEENS1_30default_config_static_selectorELNS0_4arch9wavefront6targetE0EEEvSF_,"axG",@progbits,_ZN7rocprim17ROCPRIM_400000_NS6detail17trampoline_kernelINS0_14default_configENS1_22reduce_config_selectorI18summary_stats_dataIfEEEZNS1_11reduce_implILb1ES3_PS6_S9_S6_23summary_stats_binary_opIfEEE10hipError_tPvRmT1_T2_T3_mT4_P12ihipStream_tbEUlT_E1_NS1_11comp_targetILNS1_3genE10ELNS1_11target_archE1200ELNS1_3gpuE4ELNS1_3repE0EEENS1_30default_config_static_selectorELNS0_4arch9wavefront6targetE0EEEvSF_,comdat
.Lfunc_end15:
	.size	_ZN7rocprim17ROCPRIM_400000_NS6detail17trampoline_kernelINS0_14default_configENS1_22reduce_config_selectorI18summary_stats_dataIfEEEZNS1_11reduce_implILb1ES3_PS6_S9_S6_23summary_stats_binary_opIfEEE10hipError_tPvRmT1_T2_T3_mT4_P12ihipStream_tbEUlT_E1_NS1_11comp_targetILNS1_3genE10ELNS1_11target_archE1200ELNS1_3gpuE4ELNS1_3repE0EEENS1_30default_config_static_selectorELNS0_4arch9wavefront6targetE0EEEvSF_, .Lfunc_end15-_ZN7rocprim17ROCPRIM_400000_NS6detail17trampoline_kernelINS0_14default_configENS1_22reduce_config_selectorI18summary_stats_dataIfEEEZNS1_11reduce_implILb1ES3_PS6_S9_S6_23summary_stats_binary_opIfEEE10hipError_tPvRmT1_T2_T3_mT4_P12ihipStream_tbEUlT_E1_NS1_11comp_targetILNS1_3genE10ELNS1_11target_archE1200ELNS1_3gpuE4ELNS1_3repE0EEENS1_30default_config_static_selectorELNS0_4arch9wavefront6targetE0EEEvSF_
                                        ; -- End function
	.set _ZN7rocprim17ROCPRIM_400000_NS6detail17trampoline_kernelINS0_14default_configENS1_22reduce_config_selectorI18summary_stats_dataIfEEEZNS1_11reduce_implILb1ES3_PS6_S9_S6_23summary_stats_binary_opIfEEE10hipError_tPvRmT1_T2_T3_mT4_P12ihipStream_tbEUlT_E1_NS1_11comp_targetILNS1_3genE10ELNS1_11target_archE1200ELNS1_3gpuE4ELNS1_3repE0EEENS1_30default_config_static_selectorELNS0_4arch9wavefront6targetE0EEEvSF_.num_vgpr, 0
	.set _ZN7rocprim17ROCPRIM_400000_NS6detail17trampoline_kernelINS0_14default_configENS1_22reduce_config_selectorI18summary_stats_dataIfEEEZNS1_11reduce_implILb1ES3_PS6_S9_S6_23summary_stats_binary_opIfEEE10hipError_tPvRmT1_T2_T3_mT4_P12ihipStream_tbEUlT_E1_NS1_11comp_targetILNS1_3genE10ELNS1_11target_archE1200ELNS1_3gpuE4ELNS1_3repE0EEENS1_30default_config_static_selectorELNS0_4arch9wavefront6targetE0EEEvSF_.num_agpr, 0
	.set _ZN7rocprim17ROCPRIM_400000_NS6detail17trampoline_kernelINS0_14default_configENS1_22reduce_config_selectorI18summary_stats_dataIfEEEZNS1_11reduce_implILb1ES3_PS6_S9_S6_23summary_stats_binary_opIfEEE10hipError_tPvRmT1_T2_T3_mT4_P12ihipStream_tbEUlT_E1_NS1_11comp_targetILNS1_3genE10ELNS1_11target_archE1200ELNS1_3gpuE4ELNS1_3repE0EEENS1_30default_config_static_selectorELNS0_4arch9wavefront6targetE0EEEvSF_.numbered_sgpr, 0
	.set _ZN7rocprim17ROCPRIM_400000_NS6detail17trampoline_kernelINS0_14default_configENS1_22reduce_config_selectorI18summary_stats_dataIfEEEZNS1_11reduce_implILb1ES3_PS6_S9_S6_23summary_stats_binary_opIfEEE10hipError_tPvRmT1_T2_T3_mT4_P12ihipStream_tbEUlT_E1_NS1_11comp_targetILNS1_3genE10ELNS1_11target_archE1200ELNS1_3gpuE4ELNS1_3repE0EEENS1_30default_config_static_selectorELNS0_4arch9wavefront6targetE0EEEvSF_.num_named_barrier, 0
	.set _ZN7rocprim17ROCPRIM_400000_NS6detail17trampoline_kernelINS0_14default_configENS1_22reduce_config_selectorI18summary_stats_dataIfEEEZNS1_11reduce_implILb1ES3_PS6_S9_S6_23summary_stats_binary_opIfEEE10hipError_tPvRmT1_T2_T3_mT4_P12ihipStream_tbEUlT_E1_NS1_11comp_targetILNS1_3genE10ELNS1_11target_archE1200ELNS1_3gpuE4ELNS1_3repE0EEENS1_30default_config_static_selectorELNS0_4arch9wavefront6targetE0EEEvSF_.private_seg_size, 0
	.set _ZN7rocprim17ROCPRIM_400000_NS6detail17trampoline_kernelINS0_14default_configENS1_22reduce_config_selectorI18summary_stats_dataIfEEEZNS1_11reduce_implILb1ES3_PS6_S9_S6_23summary_stats_binary_opIfEEE10hipError_tPvRmT1_T2_T3_mT4_P12ihipStream_tbEUlT_E1_NS1_11comp_targetILNS1_3genE10ELNS1_11target_archE1200ELNS1_3gpuE4ELNS1_3repE0EEENS1_30default_config_static_selectorELNS0_4arch9wavefront6targetE0EEEvSF_.uses_vcc, 0
	.set _ZN7rocprim17ROCPRIM_400000_NS6detail17trampoline_kernelINS0_14default_configENS1_22reduce_config_selectorI18summary_stats_dataIfEEEZNS1_11reduce_implILb1ES3_PS6_S9_S6_23summary_stats_binary_opIfEEE10hipError_tPvRmT1_T2_T3_mT4_P12ihipStream_tbEUlT_E1_NS1_11comp_targetILNS1_3genE10ELNS1_11target_archE1200ELNS1_3gpuE4ELNS1_3repE0EEENS1_30default_config_static_selectorELNS0_4arch9wavefront6targetE0EEEvSF_.uses_flat_scratch, 0
	.set _ZN7rocprim17ROCPRIM_400000_NS6detail17trampoline_kernelINS0_14default_configENS1_22reduce_config_selectorI18summary_stats_dataIfEEEZNS1_11reduce_implILb1ES3_PS6_S9_S6_23summary_stats_binary_opIfEEE10hipError_tPvRmT1_T2_T3_mT4_P12ihipStream_tbEUlT_E1_NS1_11comp_targetILNS1_3genE10ELNS1_11target_archE1200ELNS1_3gpuE4ELNS1_3repE0EEENS1_30default_config_static_selectorELNS0_4arch9wavefront6targetE0EEEvSF_.has_dyn_sized_stack, 0
	.set _ZN7rocprim17ROCPRIM_400000_NS6detail17trampoline_kernelINS0_14default_configENS1_22reduce_config_selectorI18summary_stats_dataIfEEEZNS1_11reduce_implILb1ES3_PS6_S9_S6_23summary_stats_binary_opIfEEE10hipError_tPvRmT1_T2_T3_mT4_P12ihipStream_tbEUlT_E1_NS1_11comp_targetILNS1_3genE10ELNS1_11target_archE1200ELNS1_3gpuE4ELNS1_3repE0EEENS1_30default_config_static_selectorELNS0_4arch9wavefront6targetE0EEEvSF_.has_recursion, 0
	.set _ZN7rocprim17ROCPRIM_400000_NS6detail17trampoline_kernelINS0_14default_configENS1_22reduce_config_selectorI18summary_stats_dataIfEEEZNS1_11reduce_implILb1ES3_PS6_S9_S6_23summary_stats_binary_opIfEEE10hipError_tPvRmT1_T2_T3_mT4_P12ihipStream_tbEUlT_E1_NS1_11comp_targetILNS1_3genE10ELNS1_11target_archE1200ELNS1_3gpuE4ELNS1_3repE0EEENS1_30default_config_static_selectorELNS0_4arch9wavefront6targetE0EEEvSF_.has_indirect_call, 0
	.section	.AMDGPU.csdata,"",@progbits
; Kernel info:
; codeLenInByte = 0
; TotalNumSgprs: 0
; NumVgprs: 0
; ScratchSize: 0
; MemoryBound: 0
; FloatMode: 240
; IeeeMode: 1
; LDSByteSize: 0 bytes/workgroup (compile time only)
; SGPRBlocks: 0
; VGPRBlocks: 0
; NumSGPRsForWavesPerEU: 1
; NumVGPRsForWavesPerEU: 1
; NamedBarCnt: 0
; Occupancy: 16
; WaveLimiterHint : 0
; COMPUTE_PGM_RSRC2:SCRATCH_EN: 0
; COMPUTE_PGM_RSRC2:USER_SGPR: 2
; COMPUTE_PGM_RSRC2:TRAP_HANDLER: 0
; COMPUTE_PGM_RSRC2:TGID_X_EN: 1
; COMPUTE_PGM_RSRC2:TGID_Y_EN: 0
; COMPUTE_PGM_RSRC2:TGID_Z_EN: 0
; COMPUTE_PGM_RSRC2:TIDIG_COMP_CNT: 0
	.section	.text._ZN7rocprim17ROCPRIM_400000_NS6detail17trampoline_kernelINS0_14default_configENS1_22reduce_config_selectorI18summary_stats_dataIfEEEZNS1_11reduce_implILb1ES3_PS6_S9_S6_23summary_stats_binary_opIfEEE10hipError_tPvRmT1_T2_T3_mT4_P12ihipStream_tbEUlT_E1_NS1_11comp_targetILNS1_3genE9ELNS1_11target_archE1100ELNS1_3gpuE3ELNS1_3repE0EEENS1_30default_config_static_selectorELNS0_4arch9wavefront6targetE0EEEvSF_,"axG",@progbits,_ZN7rocprim17ROCPRIM_400000_NS6detail17trampoline_kernelINS0_14default_configENS1_22reduce_config_selectorI18summary_stats_dataIfEEEZNS1_11reduce_implILb1ES3_PS6_S9_S6_23summary_stats_binary_opIfEEE10hipError_tPvRmT1_T2_T3_mT4_P12ihipStream_tbEUlT_E1_NS1_11comp_targetILNS1_3genE9ELNS1_11target_archE1100ELNS1_3gpuE3ELNS1_3repE0EEENS1_30default_config_static_selectorELNS0_4arch9wavefront6targetE0EEEvSF_,comdat
	.protected	_ZN7rocprim17ROCPRIM_400000_NS6detail17trampoline_kernelINS0_14default_configENS1_22reduce_config_selectorI18summary_stats_dataIfEEEZNS1_11reduce_implILb1ES3_PS6_S9_S6_23summary_stats_binary_opIfEEE10hipError_tPvRmT1_T2_T3_mT4_P12ihipStream_tbEUlT_E1_NS1_11comp_targetILNS1_3genE9ELNS1_11target_archE1100ELNS1_3gpuE3ELNS1_3repE0EEENS1_30default_config_static_selectorELNS0_4arch9wavefront6targetE0EEEvSF_ ; -- Begin function _ZN7rocprim17ROCPRIM_400000_NS6detail17trampoline_kernelINS0_14default_configENS1_22reduce_config_selectorI18summary_stats_dataIfEEEZNS1_11reduce_implILb1ES3_PS6_S9_S6_23summary_stats_binary_opIfEEE10hipError_tPvRmT1_T2_T3_mT4_P12ihipStream_tbEUlT_E1_NS1_11comp_targetILNS1_3genE9ELNS1_11target_archE1100ELNS1_3gpuE3ELNS1_3repE0EEENS1_30default_config_static_selectorELNS0_4arch9wavefront6targetE0EEEvSF_
	.globl	_ZN7rocprim17ROCPRIM_400000_NS6detail17trampoline_kernelINS0_14default_configENS1_22reduce_config_selectorI18summary_stats_dataIfEEEZNS1_11reduce_implILb1ES3_PS6_S9_S6_23summary_stats_binary_opIfEEE10hipError_tPvRmT1_T2_T3_mT4_P12ihipStream_tbEUlT_E1_NS1_11comp_targetILNS1_3genE9ELNS1_11target_archE1100ELNS1_3gpuE3ELNS1_3repE0EEENS1_30default_config_static_selectorELNS0_4arch9wavefront6targetE0EEEvSF_
	.p2align	8
	.type	_ZN7rocprim17ROCPRIM_400000_NS6detail17trampoline_kernelINS0_14default_configENS1_22reduce_config_selectorI18summary_stats_dataIfEEEZNS1_11reduce_implILb1ES3_PS6_S9_S6_23summary_stats_binary_opIfEEE10hipError_tPvRmT1_T2_T3_mT4_P12ihipStream_tbEUlT_E1_NS1_11comp_targetILNS1_3genE9ELNS1_11target_archE1100ELNS1_3gpuE3ELNS1_3repE0EEENS1_30default_config_static_selectorELNS0_4arch9wavefront6targetE0EEEvSF_,@function
_ZN7rocprim17ROCPRIM_400000_NS6detail17trampoline_kernelINS0_14default_configENS1_22reduce_config_selectorI18summary_stats_dataIfEEEZNS1_11reduce_implILb1ES3_PS6_S9_S6_23summary_stats_binary_opIfEEE10hipError_tPvRmT1_T2_T3_mT4_P12ihipStream_tbEUlT_E1_NS1_11comp_targetILNS1_3genE9ELNS1_11target_archE1100ELNS1_3gpuE3ELNS1_3repE0EEENS1_30default_config_static_selectorELNS0_4arch9wavefront6targetE0EEEvSF_: ; @_ZN7rocprim17ROCPRIM_400000_NS6detail17trampoline_kernelINS0_14default_configENS1_22reduce_config_selectorI18summary_stats_dataIfEEEZNS1_11reduce_implILb1ES3_PS6_S9_S6_23summary_stats_binary_opIfEEE10hipError_tPvRmT1_T2_T3_mT4_P12ihipStream_tbEUlT_E1_NS1_11comp_targetILNS1_3genE9ELNS1_11target_archE1100ELNS1_3gpuE3ELNS1_3repE0EEENS1_30default_config_static_selectorELNS0_4arch9wavefront6targetE0EEEvSF_
; %bb.0:
	.section	.rodata,"a",@progbits
	.p2align	6, 0x0
	.amdhsa_kernel _ZN7rocprim17ROCPRIM_400000_NS6detail17trampoline_kernelINS0_14default_configENS1_22reduce_config_selectorI18summary_stats_dataIfEEEZNS1_11reduce_implILb1ES3_PS6_S9_S6_23summary_stats_binary_opIfEEE10hipError_tPvRmT1_T2_T3_mT4_P12ihipStream_tbEUlT_E1_NS1_11comp_targetILNS1_3genE9ELNS1_11target_archE1100ELNS1_3gpuE3ELNS1_3repE0EEENS1_30default_config_static_selectorELNS0_4arch9wavefront6targetE0EEEvSF_
		.amdhsa_group_segment_fixed_size 0
		.amdhsa_private_segment_fixed_size 0
		.amdhsa_kernarg_size 64
		.amdhsa_user_sgpr_count 2
		.amdhsa_user_sgpr_dispatch_ptr 0
		.amdhsa_user_sgpr_queue_ptr 0
		.amdhsa_user_sgpr_kernarg_segment_ptr 1
		.amdhsa_user_sgpr_dispatch_id 0
		.amdhsa_user_sgpr_kernarg_preload_length 0
		.amdhsa_user_sgpr_kernarg_preload_offset 0
		.amdhsa_user_sgpr_private_segment_size 0
		.amdhsa_wavefront_size32 1
		.amdhsa_uses_dynamic_stack 0
		.amdhsa_enable_private_segment 0
		.amdhsa_system_sgpr_workgroup_id_x 1
		.amdhsa_system_sgpr_workgroup_id_y 0
		.amdhsa_system_sgpr_workgroup_id_z 0
		.amdhsa_system_sgpr_workgroup_info 0
		.amdhsa_system_vgpr_workitem_id 0
		.amdhsa_next_free_vgpr 1
		.amdhsa_next_free_sgpr 1
		.amdhsa_named_barrier_count 0
		.amdhsa_reserve_vcc 0
		.amdhsa_float_round_mode_32 0
		.amdhsa_float_round_mode_16_64 0
		.amdhsa_float_denorm_mode_32 3
		.amdhsa_float_denorm_mode_16_64 3
		.amdhsa_fp16_overflow 0
		.amdhsa_memory_ordered 1
		.amdhsa_forward_progress 1
		.amdhsa_inst_pref_size 0
		.amdhsa_round_robin_scheduling 0
		.amdhsa_exception_fp_ieee_invalid_op 0
		.amdhsa_exception_fp_denorm_src 0
		.amdhsa_exception_fp_ieee_div_zero 0
		.amdhsa_exception_fp_ieee_overflow 0
		.amdhsa_exception_fp_ieee_underflow 0
		.amdhsa_exception_fp_ieee_inexact 0
		.amdhsa_exception_int_div_zero 0
	.end_amdhsa_kernel
	.section	.text._ZN7rocprim17ROCPRIM_400000_NS6detail17trampoline_kernelINS0_14default_configENS1_22reduce_config_selectorI18summary_stats_dataIfEEEZNS1_11reduce_implILb1ES3_PS6_S9_S6_23summary_stats_binary_opIfEEE10hipError_tPvRmT1_T2_T3_mT4_P12ihipStream_tbEUlT_E1_NS1_11comp_targetILNS1_3genE9ELNS1_11target_archE1100ELNS1_3gpuE3ELNS1_3repE0EEENS1_30default_config_static_selectorELNS0_4arch9wavefront6targetE0EEEvSF_,"axG",@progbits,_ZN7rocprim17ROCPRIM_400000_NS6detail17trampoline_kernelINS0_14default_configENS1_22reduce_config_selectorI18summary_stats_dataIfEEEZNS1_11reduce_implILb1ES3_PS6_S9_S6_23summary_stats_binary_opIfEEE10hipError_tPvRmT1_T2_T3_mT4_P12ihipStream_tbEUlT_E1_NS1_11comp_targetILNS1_3genE9ELNS1_11target_archE1100ELNS1_3gpuE3ELNS1_3repE0EEENS1_30default_config_static_selectorELNS0_4arch9wavefront6targetE0EEEvSF_,comdat
.Lfunc_end16:
	.size	_ZN7rocprim17ROCPRIM_400000_NS6detail17trampoline_kernelINS0_14default_configENS1_22reduce_config_selectorI18summary_stats_dataIfEEEZNS1_11reduce_implILb1ES3_PS6_S9_S6_23summary_stats_binary_opIfEEE10hipError_tPvRmT1_T2_T3_mT4_P12ihipStream_tbEUlT_E1_NS1_11comp_targetILNS1_3genE9ELNS1_11target_archE1100ELNS1_3gpuE3ELNS1_3repE0EEENS1_30default_config_static_selectorELNS0_4arch9wavefront6targetE0EEEvSF_, .Lfunc_end16-_ZN7rocprim17ROCPRIM_400000_NS6detail17trampoline_kernelINS0_14default_configENS1_22reduce_config_selectorI18summary_stats_dataIfEEEZNS1_11reduce_implILb1ES3_PS6_S9_S6_23summary_stats_binary_opIfEEE10hipError_tPvRmT1_T2_T3_mT4_P12ihipStream_tbEUlT_E1_NS1_11comp_targetILNS1_3genE9ELNS1_11target_archE1100ELNS1_3gpuE3ELNS1_3repE0EEENS1_30default_config_static_selectorELNS0_4arch9wavefront6targetE0EEEvSF_
                                        ; -- End function
	.set _ZN7rocprim17ROCPRIM_400000_NS6detail17trampoline_kernelINS0_14default_configENS1_22reduce_config_selectorI18summary_stats_dataIfEEEZNS1_11reduce_implILb1ES3_PS6_S9_S6_23summary_stats_binary_opIfEEE10hipError_tPvRmT1_T2_T3_mT4_P12ihipStream_tbEUlT_E1_NS1_11comp_targetILNS1_3genE9ELNS1_11target_archE1100ELNS1_3gpuE3ELNS1_3repE0EEENS1_30default_config_static_selectorELNS0_4arch9wavefront6targetE0EEEvSF_.num_vgpr, 0
	.set _ZN7rocprim17ROCPRIM_400000_NS6detail17trampoline_kernelINS0_14default_configENS1_22reduce_config_selectorI18summary_stats_dataIfEEEZNS1_11reduce_implILb1ES3_PS6_S9_S6_23summary_stats_binary_opIfEEE10hipError_tPvRmT1_T2_T3_mT4_P12ihipStream_tbEUlT_E1_NS1_11comp_targetILNS1_3genE9ELNS1_11target_archE1100ELNS1_3gpuE3ELNS1_3repE0EEENS1_30default_config_static_selectorELNS0_4arch9wavefront6targetE0EEEvSF_.num_agpr, 0
	.set _ZN7rocprim17ROCPRIM_400000_NS6detail17trampoline_kernelINS0_14default_configENS1_22reduce_config_selectorI18summary_stats_dataIfEEEZNS1_11reduce_implILb1ES3_PS6_S9_S6_23summary_stats_binary_opIfEEE10hipError_tPvRmT1_T2_T3_mT4_P12ihipStream_tbEUlT_E1_NS1_11comp_targetILNS1_3genE9ELNS1_11target_archE1100ELNS1_3gpuE3ELNS1_3repE0EEENS1_30default_config_static_selectorELNS0_4arch9wavefront6targetE0EEEvSF_.numbered_sgpr, 0
	.set _ZN7rocprim17ROCPRIM_400000_NS6detail17trampoline_kernelINS0_14default_configENS1_22reduce_config_selectorI18summary_stats_dataIfEEEZNS1_11reduce_implILb1ES3_PS6_S9_S6_23summary_stats_binary_opIfEEE10hipError_tPvRmT1_T2_T3_mT4_P12ihipStream_tbEUlT_E1_NS1_11comp_targetILNS1_3genE9ELNS1_11target_archE1100ELNS1_3gpuE3ELNS1_3repE0EEENS1_30default_config_static_selectorELNS0_4arch9wavefront6targetE0EEEvSF_.num_named_barrier, 0
	.set _ZN7rocprim17ROCPRIM_400000_NS6detail17trampoline_kernelINS0_14default_configENS1_22reduce_config_selectorI18summary_stats_dataIfEEEZNS1_11reduce_implILb1ES3_PS6_S9_S6_23summary_stats_binary_opIfEEE10hipError_tPvRmT1_T2_T3_mT4_P12ihipStream_tbEUlT_E1_NS1_11comp_targetILNS1_3genE9ELNS1_11target_archE1100ELNS1_3gpuE3ELNS1_3repE0EEENS1_30default_config_static_selectorELNS0_4arch9wavefront6targetE0EEEvSF_.private_seg_size, 0
	.set _ZN7rocprim17ROCPRIM_400000_NS6detail17trampoline_kernelINS0_14default_configENS1_22reduce_config_selectorI18summary_stats_dataIfEEEZNS1_11reduce_implILb1ES3_PS6_S9_S6_23summary_stats_binary_opIfEEE10hipError_tPvRmT1_T2_T3_mT4_P12ihipStream_tbEUlT_E1_NS1_11comp_targetILNS1_3genE9ELNS1_11target_archE1100ELNS1_3gpuE3ELNS1_3repE0EEENS1_30default_config_static_selectorELNS0_4arch9wavefront6targetE0EEEvSF_.uses_vcc, 0
	.set _ZN7rocprim17ROCPRIM_400000_NS6detail17trampoline_kernelINS0_14default_configENS1_22reduce_config_selectorI18summary_stats_dataIfEEEZNS1_11reduce_implILb1ES3_PS6_S9_S6_23summary_stats_binary_opIfEEE10hipError_tPvRmT1_T2_T3_mT4_P12ihipStream_tbEUlT_E1_NS1_11comp_targetILNS1_3genE9ELNS1_11target_archE1100ELNS1_3gpuE3ELNS1_3repE0EEENS1_30default_config_static_selectorELNS0_4arch9wavefront6targetE0EEEvSF_.uses_flat_scratch, 0
	.set _ZN7rocprim17ROCPRIM_400000_NS6detail17trampoline_kernelINS0_14default_configENS1_22reduce_config_selectorI18summary_stats_dataIfEEEZNS1_11reduce_implILb1ES3_PS6_S9_S6_23summary_stats_binary_opIfEEE10hipError_tPvRmT1_T2_T3_mT4_P12ihipStream_tbEUlT_E1_NS1_11comp_targetILNS1_3genE9ELNS1_11target_archE1100ELNS1_3gpuE3ELNS1_3repE0EEENS1_30default_config_static_selectorELNS0_4arch9wavefront6targetE0EEEvSF_.has_dyn_sized_stack, 0
	.set _ZN7rocprim17ROCPRIM_400000_NS6detail17trampoline_kernelINS0_14default_configENS1_22reduce_config_selectorI18summary_stats_dataIfEEEZNS1_11reduce_implILb1ES3_PS6_S9_S6_23summary_stats_binary_opIfEEE10hipError_tPvRmT1_T2_T3_mT4_P12ihipStream_tbEUlT_E1_NS1_11comp_targetILNS1_3genE9ELNS1_11target_archE1100ELNS1_3gpuE3ELNS1_3repE0EEENS1_30default_config_static_selectorELNS0_4arch9wavefront6targetE0EEEvSF_.has_recursion, 0
	.set _ZN7rocprim17ROCPRIM_400000_NS6detail17trampoline_kernelINS0_14default_configENS1_22reduce_config_selectorI18summary_stats_dataIfEEEZNS1_11reduce_implILb1ES3_PS6_S9_S6_23summary_stats_binary_opIfEEE10hipError_tPvRmT1_T2_T3_mT4_P12ihipStream_tbEUlT_E1_NS1_11comp_targetILNS1_3genE9ELNS1_11target_archE1100ELNS1_3gpuE3ELNS1_3repE0EEENS1_30default_config_static_selectorELNS0_4arch9wavefront6targetE0EEEvSF_.has_indirect_call, 0
	.section	.AMDGPU.csdata,"",@progbits
; Kernel info:
; codeLenInByte = 0
; TotalNumSgprs: 0
; NumVgprs: 0
; ScratchSize: 0
; MemoryBound: 0
; FloatMode: 240
; IeeeMode: 1
; LDSByteSize: 0 bytes/workgroup (compile time only)
; SGPRBlocks: 0
; VGPRBlocks: 0
; NumSGPRsForWavesPerEU: 1
; NumVGPRsForWavesPerEU: 1
; NamedBarCnt: 0
; Occupancy: 16
; WaveLimiterHint : 0
; COMPUTE_PGM_RSRC2:SCRATCH_EN: 0
; COMPUTE_PGM_RSRC2:USER_SGPR: 2
; COMPUTE_PGM_RSRC2:TRAP_HANDLER: 0
; COMPUTE_PGM_RSRC2:TGID_X_EN: 1
; COMPUTE_PGM_RSRC2:TGID_Y_EN: 0
; COMPUTE_PGM_RSRC2:TGID_Z_EN: 0
; COMPUTE_PGM_RSRC2:TIDIG_COMP_CNT: 0
	.section	.text._ZN7rocprim17ROCPRIM_400000_NS6detail17trampoline_kernelINS0_14default_configENS1_22reduce_config_selectorI18summary_stats_dataIfEEEZNS1_11reduce_implILb1ES3_PS6_S9_S6_23summary_stats_binary_opIfEEE10hipError_tPvRmT1_T2_T3_mT4_P12ihipStream_tbEUlT_E1_NS1_11comp_targetILNS1_3genE8ELNS1_11target_archE1030ELNS1_3gpuE2ELNS1_3repE0EEENS1_30default_config_static_selectorELNS0_4arch9wavefront6targetE0EEEvSF_,"axG",@progbits,_ZN7rocprim17ROCPRIM_400000_NS6detail17trampoline_kernelINS0_14default_configENS1_22reduce_config_selectorI18summary_stats_dataIfEEEZNS1_11reduce_implILb1ES3_PS6_S9_S6_23summary_stats_binary_opIfEEE10hipError_tPvRmT1_T2_T3_mT4_P12ihipStream_tbEUlT_E1_NS1_11comp_targetILNS1_3genE8ELNS1_11target_archE1030ELNS1_3gpuE2ELNS1_3repE0EEENS1_30default_config_static_selectorELNS0_4arch9wavefront6targetE0EEEvSF_,comdat
	.protected	_ZN7rocprim17ROCPRIM_400000_NS6detail17trampoline_kernelINS0_14default_configENS1_22reduce_config_selectorI18summary_stats_dataIfEEEZNS1_11reduce_implILb1ES3_PS6_S9_S6_23summary_stats_binary_opIfEEE10hipError_tPvRmT1_T2_T3_mT4_P12ihipStream_tbEUlT_E1_NS1_11comp_targetILNS1_3genE8ELNS1_11target_archE1030ELNS1_3gpuE2ELNS1_3repE0EEENS1_30default_config_static_selectorELNS0_4arch9wavefront6targetE0EEEvSF_ ; -- Begin function _ZN7rocprim17ROCPRIM_400000_NS6detail17trampoline_kernelINS0_14default_configENS1_22reduce_config_selectorI18summary_stats_dataIfEEEZNS1_11reduce_implILb1ES3_PS6_S9_S6_23summary_stats_binary_opIfEEE10hipError_tPvRmT1_T2_T3_mT4_P12ihipStream_tbEUlT_E1_NS1_11comp_targetILNS1_3genE8ELNS1_11target_archE1030ELNS1_3gpuE2ELNS1_3repE0EEENS1_30default_config_static_selectorELNS0_4arch9wavefront6targetE0EEEvSF_
	.globl	_ZN7rocprim17ROCPRIM_400000_NS6detail17trampoline_kernelINS0_14default_configENS1_22reduce_config_selectorI18summary_stats_dataIfEEEZNS1_11reduce_implILb1ES3_PS6_S9_S6_23summary_stats_binary_opIfEEE10hipError_tPvRmT1_T2_T3_mT4_P12ihipStream_tbEUlT_E1_NS1_11comp_targetILNS1_3genE8ELNS1_11target_archE1030ELNS1_3gpuE2ELNS1_3repE0EEENS1_30default_config_static_selectorELNS0_4arch9wavefront6targetE0EEEvSF_
	.p2align	8
	.type	_ZN7rocprim17ROCPRIM_400000_NS6detail17trampoline_kernelINS0_14default_configENS1_22reduce_config_selectorI18summary_stats_dataIfEEEZNS1_11reduce_implILb1ES3_PS6_S9_S6_23summary_stats_binary_opIfEEE10hipError_tPvRmT1_T2_T3_mT4_P12ihipStream_tbEUlT_E1_NS1_11comp_targetILNS1_3genE8ELNS1_11target_archE1030ELNS1_3gpuE2ELNS1_3repE0EEENS1_30default_config_static_selectorELNS0_4arch9wavefront6targetE0EEEvSF_,@function
_ZN7rocprim17ROCPRIM_400000_NS6detail17trampoline_kernelINS0_14default_configENS1_22reduce_config_selectorI18summary_stats_dataIfEEEZNS1_11reduce_implILb1ES3_PS6_S9_S6_23summary_stats_binary_opIfEEE10hipError_tPvRmT1_T2_T3_mT4_P12ihipStream_tbEUlT_E1_NS1_11comp_targetILNS1_3genE8ELNS1_11target_archE1030ELNS1_3gpuE2ELNS1_3repE0EEENS1_30default_config_static_selectorELNS0_4arch9wavefront6targetE0EEEvSF_: ; @_ZN7rocprim17ROCPRIM_400000_NS6detail17trampoline_kernelINS0_14default_configENS1_22reduce_config_selectorI18summary_stats_dataIfEEEZNS1_11reduce_implILb1ES3_PS6_S9_S6_23summary_stats_binary_opIfEEE10hipError_tPvRmT1_T2_T3_mT4_P12ihipStream_tbEUlT_E1_NS1_11comp_targetILNS1_3genE8ELNS1_11target_archE1030ELNS1_3gpuE2ELNS1_3repE0EEENS1_30default_config_static_selectorELNS0_4arch9wavefront6targetE0EEEvSF_
; %bb.0:
	.section	.rodata,"a",@progbits
	.p2align	6, 0x0
	.amdhsa_kernel _ZN7rocprim17ROCPRIM_400000_NS6detail17trampoline_kernelINS0_14default_configENS1_22reduce_config_selectorI18summary_stats_dataIfEEEZNS1_11reduce_implILb1ES3_PS6_S9_S6_23summary_stats_binary_opIfEEE10hipError_tPvRmT1_T2_T3_mT4_P12ihipStream_tbEUlT_E1_NS1_11comp_targetILNS1_3genE8ELNS1_11target_archE1030ELNS1_3gpuE2ELNS1_3repE0EEENS1_30default_config_static_selectorELNS0_4arch9wavefront6targetE0EEEvSF_
		.amdhsa_group_segment_fixed_size 0
		.amdhsa_private_segment_fixed_size 0
		.amdhsa_kernarg_size 64
		.amdhsa_user_sgpr_count 2
		.amdhsa_user_sgpr_dispatch_ptr 0
		.amdhsa_user_sgpr_queue_ptr 0
		.amdhsa_user_sgpr_kernarg_segment_ptr 1
		.amdhsa_user_sgpr_dispatch_id 0
		.amdhsa_user_sgpr_kernarg_preload_length 0
		.amdhsa_user_sgpr_kernarg_preload_offset 0
		.amdhsa_user_sgpr_private_segment_size 0
		.amdhsa_wavefront_size32 1
		.amdhsa_uses_dynamic_stack 0
		.amdhsa_enable_private_segment 0
		.amdhsa_system_sgpr_workgroup_id_x 1
		.amdhsa_system_sgpr_workgroup_id_y 0
		.amdhsa_system_sgpr_workgroup_id_z 0
		.amdhsa_system_sgpr_workgroup_info 0
		.amdhsa_system_vgpr_workitem_id 0
		.amdhsa_next_free_vgpr 1
		.amdhsa_next_free_sgpr 1
		.amdhsa_named_barrier_count 0
		.amdhsa_reserve_vcc 0
		.amdhsa_float_round_mode_32 0
		.amdhsa_float_round_mode_16_64 0
		.amdhsa_float_denorm_mode_32 3
		.amdhsa_float_denorm_mode_16_64 3
		.amdhsa_fp16_overflow 0
		.amdhsa_memory_ordered 1
		.amdhsa_forward_progress 1
		.amdhsa_inst_pref_size 0
		.amdhsa_round_robin_scheduling 0
		.amdhsa_exception_fp_ieee_invalid_op 0
		.amdhsa_exception_fp_denorm_src 0
		.amdhsa_exception_fp_ieee_div_zero 0
		.amdhsa_exception_fp_ieee_overflow 0
		.amdhsa_exception_fp_ieee_underflow 0
		.amdhsa_exception_fp_ieee_inexact 0
		.amdhsa_exception_int_div_zero 0
	.end_amdhsa_kernel
	.section	.text._ZN7rocprim17ROCPRIM_400000_NS6detail17trampoline_kernelINS0_14default_configENS1_22reduce_config_selectorI18summary_stats_dataIfEEEZNS1_11reduce_implILb1ES3_PS6_S9_S6_23summary_stats_binary_opIfEEE10hipError_tPvRmT1_T2_T3_mT4_P12ihipStream_tbEUlT_E1_NS1_11comp_targetILNS1_3genE8ELNS1_11target_archE1030ELNS1_3gpuE2ELNS1_3repE0EEENS1_30default_config_static_selectorELNS0_4arch9wavefront6targetE0EEEvSF_,"axG",@progbits,_ZN7rocprim17ROCPRIM_400000_NS6detail17trampoline_kernelINS0_14default_configENS1_22reduce_config_selectorI18summary_stats_dataIfEEEZNS1_11reduce_implILb1ES3_PS6_S9_S6_23summary_stats_binary_opIfEEE10hipError_tPvRmT1_T2_T3_mT4_P12ihipStream_tbEUlT_E1_NS1_11comp_targetILNS1_3genE8ELNS1_11target_archE1030ELNS1_3gpuE2ELNS1_3repE0EEENS1_30default_config_static_selectorELNS0_4arch9wavefront6targetE0EEEvSF_,comdat
.Lfunc_end17:
	.size	_ZN7rocprim17ROCPRIM_400000_NS6detail17trampoline_kernelINS0_14default_configENS1_22reduce_config_selectorI18summary_stats_dataIfEEEZNS1_11reduce_implILb1ES3_PS6_S9_S6_23summary_stats_binary_opIfEEE10hipError_tPvRmT1_T2_T3_mT4_P12ihipStream_tbEUlT_E1_NS1_11comp_targetILNS1_3genE8ELNS1_11target_archE1030ELNS1_3gpuE2ELNS1_3repE0EEENS1_30default_config_static_selectorELNS0_4arch9wavefront6targetE0EEEvSF_, .Lfunc_end17-_ZN7rocprim17ROCPRIM_400000_NS6detail17trampoline_kernelINS0_14default_configENS1_22reduce_config_selectorI18summary_stats_dataIfEEEZNS1_11reduce_implILb1ES3_PS6_S9_S6_23summary_stats_binary_opIfEEE10hipError_tPvRmT1_T2_T3_mT4_P12ihipStream_tbEUlT_E1_NS1_11comp_targetILNS1_3genE8ELNS1_11target_archE1030ELNS1_3gpuE2ELNS1_3repE0EEENS1_30default_config_static_selectorELNS0_4arch9wavefront6targetE0EEEvSF_
                                        ; -- End function
	.set _ZN7rocprim17ROCPRIM_400000_NS6detail17trampoline_kernelINS0_14default_configENS1_22reduce_config_selectorI18summary_stats_dataIfEEEZNS1_11reduce_implILb1ES3_PS6_S9_S6_23summary_stats_binary_opIfEEE10hipError_tPvRmT1_T2_T3_mT4_P12ihipStream_tbEUlT_E1_NS1_11comp_targetILNS1_3genE8ELNS1_11target_archE1030ELNS1_3gpuE2ELNS1_3repE0EEENS1_30default_config_static_selectorELNS0_4arch9wavefront6targetE0EEEvSF_.num_vgpr, 0
	.set _ZN7rocprim17ROCPRIM_400000_NS6detail17trampoline_kernelINS0_14default_configENS1_22reduce_config_selectorI18summary_stats_dataIfEEEZNS1_11reduce_implILb1ES3_PS6_S9_S6_23summary_stats_binary_opIfEEE10hipError_tPvRmT1_T2_T3_mT4_P12ihipStream_tbEUlT_E1_NS1_11comp_targetILNS1_3genE8ELNS1_11target_archE1030ELNS1_3gpuE2ELNS1_3repE0EEENS1_30default_config_static_selectorELNS0_4arch9wavefront6targetE0EEEvSF_.num_agpr, 0
	.set _ZN7rocprim17ROCPRIM_400000_NS6detail17trampoline_kernelINS0_14default_configENS1_22reduce_config_selectorI18summary_stats_dataIfEEEZNS1_11reduce_implILb1ES3_PS6_S9_S6_23summary_stats_binary_opIfEEE10hipError_tPvRmT1_T2_T3_mT4_P12ihipStream_tbEUlT_E1_NS1_11comp_targetILNS1_3genE8ELNS1_11target_archE1030ELNS1_3gpuE2ELNS1_3repE0EEENS1_30default_config_static_selectorELNS0_4arch9wavefront6targetE0EEEvSF_.numbered_sgpr, 0
	.set _ZN7rocprim17ROCPRIM_400000_NS6detail17trampoline_kernelINS0_14default_configENS1_22reduce_config_selectorI18summary_stats_dataIfEEEZNS1_11reduce_implILb1ES3_PS6_S9_S6_23summary_stats_binary_opIfEEE10hipError_tPvRmT1_T2_T3_mT4_P12ihipStream_tbEUlT_E1_NS1_11comp_targetILNS1_3genE8ELNS1_11target_archE1030ELNS1_3gpuE2ELNS1_3repE0EEENS1_30default_config_static_selectorELNS0_4arch9wavefront6targetE0EEEvSF_.num_named_barrier, 0
	.set _ZN7rocprim17ROCPRIM_400000_NS6detail17trampoline_kernelINS0_14default_configENS1_22reduce_config_selectorI18summary_stats_dataIfEEEZNS1_11reduce_implILb1ES3_PS6_S9_S6_23summary_stats_binary_opIfEEE10hipError_tPvRmT1_T2_T3_mT4_P12ihipStream_tbEUlT_E1_NS1_11comp_targetILNS1_3genE8ELNS1_11target_archE1030ELNS1_3gpuE2ELNS1_3repE0EEENS1_30default_config_static_selectorELNS0_4arch9wavefront6targetE0EEEvSF_.private_seg_size, 0
	.set _ZN7rocprim17ROCPRIM_400000_NS6detail17trampoline_kernelINS0_14default_configENS1_22reduce_config_selectorI18summary_stats_dataIfEEEZNS1_11reduce_implILb1ES3_PS6_S9_S6_23summary_stats_binary_opIfEEE10hipError_tPvRmT1_T2_T3_mT4_P12ihipStream_tbEUlT_E1_NS1_11comp_targetILNS1_3genE8ELNS1_11target_archE1030ELNS1_3gpuE2ELNS1_3repE0EEENS1_30default_config_static_selectorELNS0_4arch9wavefront6targetE0EEEvSF_.uses_vcc, 0
	.set _ZN7rocprim17ROCPRIM_400000_NS6detail17trampoline_kernelINS0_14default_configENS1_22reduce_config_selectorI18summary_stats_dataIfEEEZNS1_11reduce_implILb1ES3_PS6_S9_S6_23summary_stats_binary_opIfEEE10hipError_tPvRmT1_T2_T3_mT4_P12ihipStream_tbEUlT_E1_NS1_11comp_targetILNS1_3genE8ELNS1_11target_archE1030ELNS1_3gpuE2ELNS1_3repE0EEENS1_30default_config_static_selectorELNS0_4arch9wavefront6targetE0EEEvSF_.uses_flat_scratch, 0
	.set _ZN7rocprim17ROCPRIM_400000_NS6detail17trampoline_kernelINS0_14default_configENS1_22reduce_config_selectorI18summary_stats_dataIfEEEZNS1_11reduce_implILb1ES3_PS6_S9_S6_23summary_stats_binary_opIfEEE10hipError_tPvRmT1_T2_T3_mT4_P12ihipStream_tbEUlT_E1_NS1_11comp_targetILNS1_3genE8ELNS1_11target_archE1030ELNS1_3gpuE2ELNS1_3repE0EEENS1_30default_config_static_selectorELNS0_4arch9wavefront6targetE0EEEvSF_.has_dyn_sized_stack, 0
	.set _ZN7rocprim17ROCPRIM_400000_NS6detail17trampoline_kernelINS0_14default_configENS1_22reduce_config_selectorI18summary_stats_dataIfEEEZNS1_11reduce_implILb1ES3_PS6_S9_S6_23summary_stats_binary_opIfEEE10hipError_tPvRmT1_T2_T3_mT4_P12ihipStream_tbEUlT_E1_NS1_11comp_targetILNS1_3genE8ELNS1_11target_archE1030ELNS1_3gpuE2ELNS1_3repE0EEENS1_30default_config_static_selectorELNS0_4arch9wavefront6targetE0EEEvSF_.has_recursion, 0
	.set _ZN7rocprim17ROCPRIM_400000_NS6detail17trampoline_kernelINS0_14default_configENS1_22reduce_config_selectorI18summary_stats_dataIfEEEZNS1_11reduce_implILb1ES3_PS6_S9_S6_23summary_stats_binary_opIfEEE10hipError_tPvRmT1_T2_T3_mT4_P12ihipStream_tbEUlT_E1_NS1_11comp_targetILNS1_3genE8ELNS1_11target_archE1030ELNS1_3gpuE2ELNS1_3repE0EEENS1_30default_config_static_selectorELNS0_4arch9wavefront6targetE0EEEvSF_.has_indirect_call, 0
	.section	.AMDGPU.csdata,"",@progbits
; Kernel info:
; codeLenInByte = 0
; TotalNumSgprs: 0
; NumVgprs: 0
; ScratchSize: 0
; MemoryBound: 0
; FloatMode: 240
; IeeeMode: 1
; LDSByteSize: 0 bytes/workgroup (compile time only)
; SGPRBlocks: 0
; VGPRBlocks: 0
; NumSGPRsForWavesPerEU: 1
; NumVGPRsForWavesPerEU: 1
; NamedBarCnt: 0
; Occupancy: 16
; WaveLimiterHint : 0
; COMPUTE_PGM_RSRC2:SCRATCH_EN: 0
; COMPUTE_PGM_RSRC2:USER_SGPR: 2
; COMPUTE_PGM_RSRC2:TRAP_HANDLER: 0
; COMPUTE_PGM_RSRC2:TGID_X_EN: 1
; COMPUTE_PGM_RSRC2:TGID_Y_EN: 0
; COMPUTE_PGM_RSRC2:TGID_Z_EN: 0
; COMPUTE_PGM_RSRC2:TIDIG_COMP_CNT: 0
	.section	.text._ZN7rocprim17ROCPRIM_400000_NS6detail17trampoline_kernelINS0_14default_configENS1_22reduce_config_selectorI18summary_stats_dataIfEEEZNS1_11reduce_implILb1ES3_N6thrust23THRUST_200600_302600_NS11hip_rocprim26transform_input_iterator_tIS6_NSA_6detail15normal_iteratorINSA_10device_ptrIfEEEE22summary_stats_unary_opIfEEEPS6_S6_23summary_stats_binary_opIfEEE10hipError_tPvRmT1_T2_T3_mT4_P12ihipStream_tbEUlT_E0_NS1_11comp_targetILNS1_3genE0ELNS1_11target_archE4294967295ELNS1_3gpuE0ELNS1_3repE0EEENS1_30default_config_static_selectorELNS0_4arch9wavefront6targetE0EEEvSR_,"axG",@progbits,_ZN7rocprim17ROCPRIM_400000_NS6detail17trampoline_kernelINS0_14default_configENS1_22reduce_config_selectorI18summary_stats_dataIfEEEZNS1_11reduce_implILb1ES3_N6thrust23THRUST_200600_302600_NS11hip_rocprim26transform_input_iterator_tIS6_NSA_6detail15normal_iteratorINSA_10device_ptrIfEEEE22summary_stats_unary_opIfEEEPS6_S6_23summary_stats_binary_opIfEEE10hipError_tPvRmT1_T2_T3_mT4_P12ihipStream_tbEUlT_E0_NS1_11comp_targetILNS1_3genE0ELNS1_11target_archE4294967295ELNS1_3gpuE0ELNS1_3repE0EEENS1_30default_config_static_selectorELNS0_4arch9wavefront6targetE0EEEvSR_,comdat
	.protected	_ZN7rocprim17ROCPRIM_400000_NS6detail17trampoline_kernelINS0_14default_configENS1_22reduce_config_selectorI18summary_stats_dataIfEEEZNS1_11reduce_implILb1ES3_N6thrust23THRUST_200600_302600_NS11hip_rocprim26transform_input_iterator_tIS6_NSA_6detail15normal_iteratorINSA_10device_ptrIfEEEE22summary_stats_unary_opIfEEEPS6_S6_23summary_stats_binary_opIfEEE10hipError_tPvRmT1_T2_T3_mT4_P12ihipStream_tbEUlT_E0_NS1_11comp_targetILNS1_3genE0ELNS1_11target_archE4294967295ELNS1_3gpuE0ELNS1_3repE0EEENS1_30default_config_static_selectorELNS0_4arch9wavefront6targetE0EEEvSR_ ; -- Begin function _ZN7rocprim17ROCPRIM_400000_NS6detail17trampoline_kernelINS0_14default_configENS1_22reduce_config_selectorI18summary_stats_dataIfEEEZNS1_11reduce_implILb1ES3_N6thrust23THRUST_200600_302600_NS11hip_rocprim26transform_input_iterator_tIS6_NSA_6detail15normal_iteratorINSA_10device_ptrIfEEEE22summary_stats_unary_opIfEEEPS6_S6_23summary_stats_binary_opIfEEE10hipError_tPvRmT1_T2_T3_mT4_P12ihipStream_tbEUlT_E0_NS1_11comp_targetILNS1_3genE0ELNS1_11target_archE4294967295ELNS1_3gpuE0ELNS1_3repE0EEENS1_30default_config_static_selectorELNS0_4arch9wavefront6targetE0EEEvSR_
	.globl	_ZN7rocprim17ROCPRIM_400000_NS6detail17trampoline_kernelINS0_14default_configENS1_22reduce_config_selectorI18summary_stats_dataIfEEEZNS1_11reduce_implILb1ES3_N6thrust23THRUST_200600_302600_NS11hip_rocprim26transform_input_iterator_tIS6_NSA_6detail15normal_iteratorINSA_10device_ptrIfEEEE22summary_stats_unary_opIfEEEPS6_S6_23summary_stats_binary_opIfEEE10hipError_tPvRmT1_T2_T3_mT4_P12ihipStream_tbEUlT_E0_NS1_11comp_targetILNS1_3genE0ELNS1_11target_archE4294967295ELNS1_3gpuE0ELNS1_3repE0EEENS1_30default_config_static_selectorELNS0_4arch9wavefront6targetE0EEEvSR_
	.p2align	8
	.type	_ZN7rocprim17ROCPRIM_400000_NS6detail17trampoline_kernelINS0_14default_configENS1_22reduce_config_selectorI18summary_stats_dataIfEEEZNS1_11reduce_implILb1ES3_N6thrust23THRUST_200600_302600_NS11hip_rocprim26transform_input_iterator_tIS6_NSA_6detail15normal_iteratorINSA_10device_ptrIfEEEE22summary_stats_unary_opIfEEEPS6_S6_23summary_stats_binary_opIfEEE10hipError_tPvRmT1_T2_T3_mT4_P12ihipStream_tbEUlT_E0_NS1_11comp_targetILNS1_3genE0ELNS1_11target_archE4294967295ELNS1_3gpuE0ELNS1_3repE0EEENS1_30default_config_static_selectorELNS0_4arch9wavefront6targetE0EEEvSR_,@function
_ZN7rocprim17ROCPRIM_400000_NS6detail17trampoline_kernelINS0_14default_configENS1_22reduce_config_selectorI18summary_stats_dataIfEEEZNS1_11reduce_implILb1ES3_N6thrust23THRUST_200600_302600_NS11hip_rocprim26transform_input_iterator_tIS6_NSA_6detail15normal_iteratorINSA_10device_ptrIfEEEE22summary_stats_unary_opIfEEEPS6_S6_23summary_stats_binary_opIfEEE10hipError_tPvRmT1_T2_T3_mT4_P12ihipStream_tbEUlT_E0_NS1_11comp_targetILNS1_3genE0ELNS1_11target_archE4294967295ELNS1_3gpuE0ELNS1_3repE0EEENS1_30default_config_static_selectorELNS0_4arch9wavefront6targetE0EEEvSR_: ; @_ZN7rocprim17ROCPRIM_400000_NS6detail17trampoline_kernelINS0_14default_configENS1_22reduce_config_selectorI18summary_stats_dataIfEEEZNS1_11reduce_implILb1ES3_N6thrust23THRUST_200600_302600_NS11hip_rocprim26transform_input_iterator_tIS6_NSA_6detail15normal_iteratorINSA_10device_ptrIfEEEE22summary_stats_unary_opIfEEEPS6_S6_23summary_stats_binary_opIfEEE10hipError_tPvRmT1_T2_T3_mT4_P12ihipStream_tbEUlT_E0_NS1_11comp_targetILNS1_3genE0ELNS1_11target_archE4294967295ELNS1_3gpuE0ELNS1_3repE0EEENS1_30default_config_static_selectorELNS0_4arch9wavefront6targetE0EEEvSR_
; %bb.0:
	s_clause 0x4
	s_load_b256 s[8:15], s[0:1], 0x10
	s_load_b64 s[2:3], s[0:1], 0x0
	s_load_b64 s[24:25], s[0:1], 0x30
	s_load_b128 s[16:19], s[0:1], 0x38
	s_load_b96 s[20:22], s[0:1], 0x48
	s_wait_xcnt 0x0
	s_bfe_u32 s0, ttmp6, 0x4000c
	s_and_b32 s1, ttmp6, 15
	s_add_co_i32 s0, s0, 1
	s_getreg_b32 s4, hwreg(HW_REG_IB_STS2, 6, 4)
	s_mul_i32 s0, ttmp9, s0
	s_mov_b32 s29, 0
	s_add_co_i32 s5, s1, s0
	v_mbcnt_lo_u32_b32 v1, -1, 0
	s_wait_kmcnt 0x0
	s_lshl_b64 s[0:1], s[8:9], 2
	s_cmp_eq_u32 s4, 0
	s_mov_b32 s9, s29
	s_cselect_b32 s8, ttmp9, s5
	s_add_nc_u64 s[0:1], s[2:3], s[0:1]
	s_lshl_b32 s28, s8, 9
	s_lshr_b64 s[2:3], s[10:11], 9
	s_lshl_b64 s[4:5], s[28:29], 2
	s_cmp_lg_u64 s[2:3], s[8:9]
	s_add_nc_u64 s[26:27], s[0:1], s[4:5]
	s_cbranch_scc0 .LBB18_6
; %bb.1:
	s_clause 0x1
	flat_load_b32 v5, v0, s[26:27] scale_offset
	flat_load_b32 v2, v0, s[26:27] offset:1024 scale_offset
	v_dual_mov_b32 v3, 2.0 :: v_dual_mov_b32 v4, 0
	s_delay_alu instid0(VALU_DEP_1) | instskip(NEXT) | instid1(VALU_DEP_1)
	v_mov_b32_dpp v7, v3 quad_perm:[1,0,3,2] row_mask:0xf bank_mask:0xf
	v_mul_f32_e32 v10, v7, v7
	s_delay_alu instid0(VALU_DEP_1) | instskip(NEXT) | instid1(VALU_DEP_1)
	v_dual_fma_f32 v6, -2.0, v7, v10 :: v_dual_add_f32 v12, -2.0, v7
	v_add_f32_e32 v13, 4.0, v6
	s_wait_loadcnt_dscnt 0x0
	v_cmp_lt_f32_e32 vcc_lo, v2, v5
	v_dual_sub_f32 v6, v2, v5 :: v_dual_cndmask_b32 v8, v5, v2, vcc_lo
	v_cmp_lt_f32_e32 vcc_lo, v5, v2
	s_delay_alu instid0(VALU_DEP_2) | instskip(SKIP_1) | instid1(VALU_DEP_4)
	v_dual_mul_f32 v11, v6, v6 :: v_dual_mul_f32 v14, 0x40400000, v6
	v_mul_f32_e32 v15, 4.0, v6
	v_mov_b32_dpp v16, v8 quad_perm:[1,0,3,2] row_mask:0xf bank_mask:0xf
	v_cndmask_b32_e32 v9, v5, v2, vcc_lo
	s_delay_alu instid0(VALU_DEP_4) | instskip(SKIP_1) | instid1(VALU_DEP_3)
	v_dual_fmac_f32 v5, 0.5, v6 :: v_dual_mul_f32 v18, v6, v11
	v_dual_mul_f32 v2, 0.5, v11 :: v_dual_mul_f32 v14, 0, v14
	v_mov_b32_dpp v17, v9 quad_perm:[1,0,3,2] row_mask:0xf bank_mask:0xf
	v_cmp_lt_f32_e32 vcc_lo, v8, v16
	v_mul_f32_e32 v11, 0x40c00000, v11
	v_mov_b32_dpp v19, v5 quad_perm:[1,0,3,2] row_mask:0xf bank_mask:0xf
	v_cndmask_b32_e32 v8, v16, v8, vcc_lo
	v_cmp_gt_f32_e32 vcc_lo, v9, v17
	v_dual_mul_f32 v15, 0, v15 :: v_dual_mul_f32 v16, v6, v18
	v_mov_b32_dpp v6, v2 quad_perm:[1,0,3,2] row_mask:0xf bank_mask:0xf
	v_dual_cndmask_b32 v9, v17, v9, vcc_lo :: v_dual_mul_f32 v17, 0, v18
	v_mov_b32_dpp v18, v8 quad_perm:[2,3,0,1] row_mask:0xf bank_mask:0xf
	s_delay_alu instid0(VALU_DEP_4) | instskip(NEXT) | instid1(VALU_DEP_3)
	v_dual_mul_f32 v11, 0, v11 :: v_dual_fmamk_f32 v16, v16, 0x3e000000, v4
	v_mov_b32_dpp v20, v9 quad_perm:[2,3,0,1] row_mask:0xf bank_mask:0xf
	s_delay_alu instid0(VALU_DEP_4) | instskip(NEXT) | instid1(VALU_DEP_4)
	v_fma_f32 v17, 0x3e800000, v17, 0
	v_cmp_lt_f32_e32 vcc_lo, v8, v18
	v_sub_f32_e32 v5, v5, v19
	v_dual_fmac_f32 v16, 0x3e800000, v11 :: v_dual_add_f32 v25, v6, v6
	s_delay_alu instid0(VALU_DEP_4) | instskip(SKIP_1) | instid1(VALU_DEP_4)
	v_dual_fmac_f32 v17, 0.5, v14 :: v_dual_cndmask_b32 v18, v18, v8
	v_cmp_gt_f32_e32 vcc_lo, v9, v20
	v_dual_mul_f32 v21, v5, v5 :: v_dual_add_f32 v22, v5, v5
	v_mul_f32_e32 v26, 4.0, v6
	s_delay_alu instid0(VALU_DEP_4)
	v_mov_b32_dpp v14, v18 row_ror:4 row_mask:0xf bank_mask:0xf
	v_cndmask_b32_e32 v20, v20, v9, vcc_lo
	v_pk_add_f32 v[8:9], v[2:3], v[6:7]
	v_mul_f32_e32 v3, v5, v21
	v_dual_mul_f32 v23, 0x40400000, v5 :: v_dual_mul_f32 v24, 4.0, v5
	v_cmp_lt_f32_e64 s0, v18, v14
	v_mov_b32_dpp v27, v20 row_ror:4 row_mask:0xf bank_mask:0xf
	s_delay_alu instid0(VALU_DEP_4) | instskip(NEXT) | instid1(VALU_DEP_3)
	v_dual_mul_f32 v5, v5, v3 :: v_dual_mul_f32 v6, 0x40c00000, v21
	v_dual_mul_f32 v21, v21, v7 :: v_dual_cndmask_b32 v14, v14, v18, s0
	v_dual_fma_f32 v25, v2, v7, -v25 :: v_dual_fmac_f32 v26, v2, v10
	v_div_scale_f32 v2, null, v9, v9, v22
	v_cmp_gt_f32_e64 s0, v20, v27
	s_delay_alu instid0(VALU_DEP_4) | instskip(SKIP_2) | instid1(VALU_DEP_4)
	v_mov_b32_dpp v31, v14 row_ror:8 row_mask:0xf bank_mask:0xf
	v_dual_mul_f32 v28, v9, v9 :: v_dual_fmac_f32 v16, 0.5, v15
	v_mul_f32_e32 v3, v3, v7
	v_dual_cndmask_b32 v18, v27, v20, s0 :: v_dual_add_f32 v20, v21, v21
	s_delay_alu instid0(VALU_DEP_3)
	v_dual_mul_f32 v21, v23, v25 :: v_dual_mul_f32 v25, v9, v28
	v_mul_f32_e32 v23, v6, v26
	v_rcp_f32_e32 v26, v2
	v_mov_b32_dpp v15, v17 quad_perm:[1,0,3,2] row_mask:0xf bank_mask:0xf
	v_mov_b32_dpp v11, v9 quad_perm:[2,3,0,1] row_mask:0xf bank_mask:0xf
	v_cmp_lt_f32_e64 s3, v14, v31
	v_mov_b32_dpp v6, v16 quad_perm:[1,0,3,2] row_mask:0xf bank_mask:0xf
	v_mov_b32_dpp v32, v18 row_ror:8 row_mask:0xf bank_mask:0xf
	v_dual_add_f32 v30, v17, v15 :: v_dual_add_f32 v15, v15, v15
	s_delay_alu instid0(VALU_DEP_3)
	v_dual_add_f32 v3, v3, v3 :: v_dual_add_f32 v16, v16, v6
	v_dual_mul_f32 v33, v5, v7 :: v_dual_cndmask_b32 v14, v31, v14, s3
	v_div_scale_f32 v34, null, v9, v9, v20
	v_fma_f32 v41, -v2, v26, 1.0
	v_dual_sub_f32 v27, v11, v9 :: v_dual_mul_f32 v29, v11, v11
	v_div_scale_f32 v36, null, v9, v9, v21
	v_div_scale_f32 v10, vcc_lo, v22, v9, v22
	v_div_scale_f32 v38, null, v28, v28, v23
	v_cmp_gt_f32_e64 s3, v18, v32
	v_dual_mul_f32 v3, v12, v3 :: v_dual_add_f32 v12, v33, v33
	v_fmac_f32_e32 v26, v41, v26
	v_fma_f32 v7, v17, v7, -v15
	v_rcp_f32_e32 v15, v34
	v_dual_fma_f32 v40, -v9, v11, v29 :: v_dual_cndmask_b32 v5, v32, v18, s3
	ds_swizzle_b32 v31, v14 offset:swizzle(BROADCAST,32,15)
	v_rcp_f32_e32 v17, v36
	v_rcp_f32_e32 v18, v38
	v_dual_mul_f32 v33, v10, v26 :: v_dual_mul_f32 v12, v13, v12
	v_dual_fmac_f32 v40, v9, v9 :: v_dual_mul_f32 v13, v24, v7
	v_fma_f32 v7, -v34, v15, 1.0
	v_div_scale_f32 v24, null, v28, v28, v3
	s_delay_alu instid0(TRANS32_DEP_2)
	v_fma_f32 v41, -v36, v17, 1.0
	v_fma_f32 v48, -v2, v33, v10
	v_div_scale_f32 v44, null, v25, v25, v12
	v_div_scale_f32 v35, s0, v20, v9, v20
	v_fma_f32 v42, -v38, v18, 1.0
	v_fmac_f32_e32 v15, v7, v15
	v_rcp_f32_e32 v43, v24
	v_div_scale_f32 v46, null, v9, v9, v13
	s_delay_alu instid0(VALU_DEP_3)
	v_dual_fmac_f32 v17, v41, v17 :: v_dual_fmac_f32 v18, v42, v18
	v_rcp_f32_e32 v41, v44
	v_div_scale_f32 v37, s1, v21, v9, v21
	v_div_scale_f32 v39, s2, v23, v28, v23
	v_dual_fmac_f32 v33, v48, v26 :: v_dual_mul_f32 v48, v35, v15
	v_rcp_f32_e32 v42, v46
	v_fma_f32 v7, -v24, v43, 1.0
	s_delay_alu instid0(VALU_DEP_3) | instskip(NEXT) | instid1(VALU_DEP_3)
	v_dual_mul_f32 v49, v37, v17 :: v_dual_mul_f32 v50, v39, v18
	v_fma_f32 v2, -v2, v33, v10
	v_fma_f32 v10, -v34, v48, v35
	v_fma_f32 v52, -v44, v41, 1.0
	s_wait_dscnt 0x0
	v_cmp_lt_f32_e64 s6, v14, v31
	v_div_scale_f32 v32, s3, v3, v28, v3
	v_div_scale_f32 v45, s4, v12, v25, v12
	v_dual_fmac_f32 v43, v7, v43 :: v_dual_fma_f32 v51, -v36, v49, v37
	v_fma_f32 v54, -v46, v42, 1.0
	v_dual_cndmask_b32 v7, v31, v14, s6 :: v_dual_fmac_f32 v48, v10, v15
	v_fmac_f32_e32 v41, v52, v41
	v_div_scale_f32 v47, s5, v13, v9, v13
	v_dual_fma_f32 v53, -v38, v50, v39 :: v_dual_mul_f32 v10, v32, v43
	v_div_fmas_f32 v2, v2, v26, v33
	v_fmac_f32_e32 v42, v54, v42
	v_dual_fma_f32 v14, -v34, v48, v35 :: v_dual_mul_f32 v31, v45, v41
	s_mov_b32 vcc_lo, s0
	s_delay_alu instid0(VALU_DEP_3)
	v_div_fixup_f32 v2, v2, v9, v22
	v_fma_f32 v22, -v24, v10, v32
	v_mul_f32_e32 v34, v47, v42
	v_div_fmas_f32 v14, v14, v15, v48
	v_fma_f32 v15, -v44, v31, v45
	v_dual_fmac_f32 v49, v51, v17 :: v_dual_fmac_f32 v50, v53, v18
	v_fmac_f32_e32 v10, v22, v43
	v_fma_f32 v22, -v46, v34, v47
	s_delay_alu instid0(VALU_DEP_4) | instskip(SKIP_1) | instid1(VALU_DEP_4)
	v_dual_fmac_f32 v31, v15, v41 :: v_dual_add_f32 v2, v2, v19
	v_div_fixup_f32 v14, v14, v9, v20
	v_fma_f32 v19, -v24, v10, v32
	v_dual_fma_f32 v26, -v36, v49, v37 :: v_dual_fma_f32 v33, -v38, v50, v39
	s_delay_alu instid0(VALU_DEP_4)
	v_mov_b32_dpp v20, v2 quad_perm:[2,3,0,1] row_mask:0xf bank_mask:0xf
	s_mov_b32 vcc_lo, s3
	v_fmac_f32_e32 v34, v22, v42
	v_add_f32_e32 v8, v8, v14
	v_div_fmas_f32 v10, v19, v43, v10
	v_dual_fma_f32 v14, -v44, v31, v45 :: v_dual_sub_f32 v19, v2, v20
	s_mov_b32 vcc_lo, s1
	v_fma_f32 v15, -v46, v34, v47
	v_div_fmas_f32 v2, v26, v17, v49
	s_mov_b32 vcc_lo, s4
	v_div_fixup_f32 v3, v10, v28, v3
	v_div_fmas_f32 v14, v14, v41, v31
	v_mov_b32_dpp v10, v8 quad_perm:[2,3,0,1] row_mask:0xf bank_mask:0xf
	v_mul_f32_e32 v17, v19, v19
	s_mov_b32 vcc_lo, s2
	v_dual_mul_f32 v22, v9, v19 :: v_dual_mul_f32 v26, 4.0, v19
	s_delay_alu instid0(VALU_DEP_3)
	v_dual_mul_f32 v24, 0x40400000, v19 :: v_dual_mul_f32 v31, v9, v10
	v_div_fixup_f32 v21, v2, v9, v21
	v_div_fmas_f32 v18, v33, v18, v50
	s_mov_b32 vcc_lo, s5
	v_add_f32_e32 v30, v30, v3
	v_div_fixup_f32 v12, v14, v25, v12
	v_dual_mul_f32 v14, v19, v17 :: v_dual_mul_f32 v25, v17, v11
	v_mul_f32_e32 v32, v28, v10
	v_pk_add_f32 v[2:3], v[8:9], v[10:11]
	v_div_fmas_f32 v15, v15, v42, v34
	v_dual_mul_f32 v17, 0x40c00000, v17 :: v_dual_add_f32 v12, v16, v12
	v_div_fixup_f32 v10, v18, v28, v23
	v_add_f32_e32 v21, v21, v30
	v_dual_mul_f32 v16, v19, v14 :: v_dual_mul_f32 v19, v9, v25
	v_dual_mul_f32 v14, v14, v11 :: v_dual_fma_f32 v23, v8, v11, -v31
	v_fmac_f32_e32 v32, v29, v8
	v_div_scale_f32 v8, null, v3, v3, v22
	v_div_fixup_f32 v18, v15, v9, v13
	v_mov_b32_dpp v13, v3 row_ror:4 row_mask:0xf bank_mask:0xf
	v_dual_mul_f32 v25, v3, v3 :: v_dual_mov_b32 v15, v3
	v_dual_add_f32 v10, v10, v12 :: v_dual_mul_f32 v14, v9, v14
	v_mov_b32_dpp v12, v21 quad_perm:[2,3,0,1] row_mask:0xf bank_mask:0xf
	v_dual_mul_f32 v23, v24, v23 :: v_dual_mul_f32 v24, v17, v32
	s_delay_alu instid0(VALU_DEP_4)
	v_dual_mul_f32 v16, v16, v11 :: v_dual_mul_f32 v29, v3, v25
	v_rcp_f32_e32 v30, v8
	v_div_scale_f32 v31, null, v3, v3, v19
	v_dual_mul_f32 v33, v13, v13 :: v_dual_mov_b32 v17, v13
	v_dual_add_f32 v10, v18, v10 :: v_dual_add_f32 v18, v21, v12
	v_dual_mul_f32 v14, v27, v14 :: v_dual_mul_f32 v16, v9, v16
	s_delay_alu instid0(VALU_DEP_3)
	v_dual_mul_f32 v9, v9, v12 :: v_dual_fma_f32 v37, -v3, v13, v33
	v_rcp_f32_e32 v12, v31
	v_div_scale_f32 v27, null, v3, v3, v23
	v_fma_f32 v38, -v8, v30, 1.0
	v_div_scale_f32 v35, null, v25, v25, v24
	v_mov_b32_dpp v39, v10 quad_perm:[2,3,0,1] row_mask:0xf bank_mask:0xf
	v_dual_mul_f32 v40, v40, v16 :: v_dual_fma_f32 v9, v21, v11, -v9
	v_div_scale_f32 v11, null, v25, v25, v14
	v_rcp_f32_e32 v21, v27
	v_div_scale_f32 v28, vcc_lo, v22, v3, v22
	v_dual_fmac_f32 v37, v3, v3 :: v_dual_fmac_f32 v30, v38, v30
	v_fma_f32 v38, -v31, v12, 1.0
	v_rcp_f32_e32 v41, v35
	v_add_f32_e32 v39, v10, v39
	v_rcp_f32_e32 v10, v11
	v_div_scale_f32 v32, s0, v19, v3, v19
	v_dual_mul_f32 v43, v28, v30 :: v_dual_fmac_f32 v12, v38, v12
	v_fma_f32 v38, -v27, v21, 1.0
	v_mul_f32_e32 v9, v26, v9
	v_div_scale_f32 v26, null, v29, v29, v40
	v_div_scale_f32 v34, s1, v23, v3, v23
	v_fma_f32 v44, -v35, v41, 1.0
	v_fma_f32 v48, -v8, v43, v28
	v_fma_f32 v50, -v11, v10, 1.0
	v_dual_fmac_f32 v21, v38, v21 :: v_dual_mul_f32 v49, v32, v12
	v_rcp_f32_e32 v45, v26
	v_div_scale_f32 v46, null, v3, v3, v9
	s_delay_alu instid0(VALU_DEP_3) | instskip(NEXT) | instid1(VALU_DEP_3)
	v_fmac_f32_e32 v10, v50, v10
	v_dual_fmac_f32 v43, v48, v30 :: v_dual_mul_f32 v48, v34, v21
	v_fmac_f32_e32 v41, v44, v41
	v_fma_f32 v44, -v31, v49, v32
	v_rcp_f32_e32 v38, v46
	v_div_scale_f32 v36, s2, v24, v25, v24
	v_div_scale_f32 v16, s3, v14, v25, v14
	v_fma_f32 v50, -v26, v45, 1.0
	v_fma_f32 v8, -v8, v43, v28
	v_fmac_f32_e32 v49, v44, v12
	s_delay_alu instid0(VALU_DEP_4) | instskip(NEXT) | instid1(VALU_DEP_4)
	v_dual_mul_f32 v28, v16, v10 :: v_dual_fma_f32 v44, -v27, v48, v34
	v_fmac_f32_e32 v45, v50, v45
	v_mul_f32_e32 v51, v36, v41
	v_fma_f32 v52, -v46, v38, 1.0
	v_div_fmas_f32 v8, v8, v30, v43
	v_fma_f32 v30, -v31, v49, v32
	s_mov_b32 vcc_lo, s0
	v_div_scale_f32 v42, s4, v40, v29, v40
	v_fma_f32 v31, -v11, v28, v16
	v_dual_fma_f32 v50, -v35, v51, v36 :: v_dual_fmac_f32 v38, v52, v38
	v_div_fmas_f32 v12, v30, v12, v49
	v_div_scale_f32 v47, s5, v9, v3, v9
	s_delay_alu instid0(VALU_DEP_4) | instskip(NEXT) | instid1(VALU_DEP_3)
	v_dual_mul_f32 v32, v42, v45 :: v_dual_fmac_f32 v28, v31, v10
	v_div_fixup_f32 v12, v12, v3, v19
	s_delay_alu instid0(VALU_DEP_3) | instskip(SKIP_2) | instid1(VALU_DEP_3)
	v_dual_fmac_f32 v48, v44, v21 :: v_dual_mul_f32 v31, v47, v38
	s_mov_b32 vcc_lo, s3
	v_fmac_f32_e32 v51, v50, v41
	v_add_f32_e32 v2, v2, v12
	s_delay_alu instid0(VALU_DEP_3) | instskip(SKIP_3) | instid1(VALU_DEP_4)
	v_dual_fma_f32 v11, -v11, v28, v16 :: v_dual_fma_f32 v16, -v46, v31, v47
	v_div_fixup_f32 v8, v8, v3, v22
	v_fma_f32 v22, -v27, v48, v34
	v_fma_f32 v27, -v26, v32, v42
	v_div_fmas_f32 v10, v11, v10, v28
	s_mov_b32 vcc_lo, s1
	v_dual_fma_f32 v30, -v35, v51, v36 :: v_dual_add_f32 v8, v8, v20
	s_delay_alu instid0(VALU_DEP_3)
	v_dual_fmac_f32 v32, v27, v45 :: v_dual_fmac_f32 v31, v16, v38
	v_div_fmas_f32 v19, v22, v21, v48
	v_div_fixup_f32 v10, v10, v25, v14
	v_mov_b32_dpp v12, v2 row_ror:4 row_mask:0xf bank_mask:0xf
	v_mov_b32_dpp v20, v8 row_ror:4 row_mask:0xf bank_mask:0xf
	s_mov_b32 vcc_lo, s4
	v_div_fixup_f32 v19, v19, v3, v23
	v_add_f32_e32 v18, v18, v10
	v_fma_f32 v11, -v26, v32, v42
	v_dual_fma_f32 v14, -v46, v31, v47 :: v_dual_sub_f32 v8, v8, v20
	v_dual_mul_f32 v16, v2, v13 :: v_dual_mul_f32 v26, v25, v12
	s_delay_alu instid0(VALU_DEP_3) | instskip(SKIP_1) | instid1(VALU_DEP_3)
	v_div_fmas_f32 v11, v11, v45, v32
	s_mov_b32 vcc_lo, s2
	v_mul_f32_e32 v27, v3, v8
	v_div_fmas_f32 v21, v30, v41, v51
	s_mov_b32 vcc_lo, s5
	v_div_fixup_f32 v22, v11, v29, v40
	v_pk_add_f32 v[10:11], v[2:3], v[12:13]
	v_div_fmas_f32 v23, v14, v38, v31
	v_mul_f32_e32 v14, v3, v12
	v_mul_f32_e32 v12, v8, v8
	v_div_fixup_f32 v24, v21, v25, v24
	v_add_f32_e32 v25, v19, v18
	v_pk_mul_f32 v[18:19], v[10:11], v[10:11]
	v_dual_mul_f32 v28, 4.0, v8 :: v_dual_add_f32 v22, v39, v22
	v_div_fixup_f32 v29, v23, v3, v9
	v_dual_fmac_f32 v26, v33, v2 :: v_dual_mul_f32 v9, v8, v12
	v_dual_mul_f32 v18, v12, v13 :: v_dual_mov_b32 v21, v11
	v_pk_add_f32 v[14:15], v[16:17], v[14:15] neg_lo:[0,1] neg_hi:[0,1]
	v_mul_f32_e32 v12, 0x40c00000, v12
	v_div_scale_f32 v16, null, v11, v11, v27
	v_mov_b32_dpp v17, v11 row_ror:8 row_mask:0xf bank_mask:0xf
	v_dual_mov_b32 v2, 0x40400000 :: v_dual_mul_f32 v31, v11, v19
	v_add_f32_e32 v22, v24, v22
	v_dual_mul_f32 v32, v8, v9 :: v_dual_mul_f32 v18, v3, v18
	v_dual_mul_f32 v9, v9, v13 :: v_dual_mul_f32 v26, v12, v26
	v_mov_b32_e32 v23, v17
	v_rcp_f32_e32 v12, v16
	v_mov_b32_dpp v24, v25 row_ror:4 row_mask:0xf bank_mask:0xf
	v_mul_f32_e32 v33, v17, v17
	v_add_f32_e32 v22, v29, v22
	v_pk_mul_f32 v[8:9], v[2:3], v[8:9]
	v_div_scale_f32 v34, null, v11, v11, v18
	v_dual_add_f32 v29, v25, v24 :: v_dual_mul_f32 v32, v32, v13
	v_mul_f32_e32 v24, v3, v24
	v_fma_f32 v39, -v11, v17, v33
	v_fma_f32 v40, -v16, v12, 1.0
	v_div_scale_f32 v36, null, v19, v19, v26
	v_mov_b32_dpp v41, v22 row_ror:4 row_mask:0xf bank_mask:0xf
	v_pk_mul_f32 v[8:9], v[8:9], v[14:15]
	v_rcp_f32_e32 v15, v34
	v_div_scale_f32 v30, vcc_lo, v27, v11, v27
	v_dual_fma_f32 v13, v25, v13, -v24 :: v_dual_mul_f32 v14, v3, v32
	v_mov_b32_e32 v3, v11
	v_dual_add_f32 v25, v19, v39 :: v_dual_fmac_f32 v12, v40, v12
	v_rcp_f32_e32 v24, v36
	s_delay_alu instid0(VALU_DEP_3) | instskip(SKIP_1) | instid1(VALU_DEP_3)
	v_dual_add_f32 v32, v22, v41 :: v_dual_mul_f32 v14, v37, v14
	v_div_scale_f32 v22, null, v11, v11, v8
	v_dual_mul_f32 v13, v28, v13 :: v_dual_mul_f32 v40, v30, v12
	v_fma_f32 v41, -v34, v15, 1.0
	v_div_scale_f32 v37, null, v19, v19, v9
	s_delay_alu instid0(VALU_DEP_4)
	v_rcp_f32_e32 v43, v22
	v_div_scale_f32 v35, s0, v18, v11, v18
	v_fma_f32 v42, -v36, v24, 1.0
	v_dual_fma_f32 v49, -v16, v40, v30 :: v_dual_fmac_f32 v15, v41, v15
	v_rcp_f32_e32 v44, v37
	v_div_scale_f32 v45, null, v31, v31, v14
	v_div_scale_f32 v38, s1, v26, v19, v26
	v_div_scale_f32 v47, null, v11, v11, v13
	v_fmac_f32_e32 v24, v42, v24
	v_dual_fmac_f32 v40, v49, v12 :: v_dual_mul_f32 v49, v35, v15
	v_fma_f32 v50, -v22, v43, 1.0
	v_rcp_f32_e32 v41, v45
	v_div_scale_f32 v28, s2, v8, v11, v8
	v_rcp_f32_e32 v42, v47
	v_fma_f32 v51, -v37, v44, 1.0
	v_dual_fma_f32 v16, -v16, v40, v30 :: v_dual_fmac_f32 v43, v50, v43
	v_mul_f32_e32 v52, v38, v24
	s_delay_alu instid0(VALU_DEP_3) | instskip(SKIP_1) | instid1(VALU_DEP_4)
	v_dual_fma_f32 v30, -v34, v49, v35 :: v_dual_fmac_f32 v44, v51, v44
	v_fma_f32 v50, -v45, v41, 1.0
	v_div_fmas_f32 v12, v16, v12, v40
	v_mul_f32_e32 v16, v28, v43
	s_delay_alu instid0(VALU_DEP_4) | instskip(SKIP_2) | instid1(VALU_DEP_3)
	v_dual_fma_f32 v51, -v36, v52, v38 :: v_dual_fmac_f32 v49, v30, v15
	v_div_scale_f32 v39, s3, v9, v19, v9
	v_fma_f32 v53, -v47, v42, 1.0
	v_dual_fmac_f32 v41, v50, v41 :: v_dual_fmac_f32 v52, v51, v24
	v_div_fixup_f32 v12, v12, v11, v27
	v_fma_f32 v27, -v34, v49, v35
	v_div_scale_f32 v46, s4, v14, v31, v14
	v_div_scale_f32 v48, s5, v13, v11, v13
	v_dual_mul_f32 v30, v39, v44 :: v_dual_fmac_f32 v42, v53, v42
	s_mov_b32 vcc_lo, s0
	v_fma_f32 v34, -v22, v16, v28
	v_div_fmas_f32 v15, v27, v15, v49
	s_delay_alu instid0(VALU_DEP_3) | instskip(SKIP_1) | instid1(VALU_DEP_4)
	v_dual_fma_f32 v35, -v37, v30, v39 :: v_dual_mul_f32 v40, v46, v41
	v_fma_f32 v36, -v36, v52, v38
	v_dual_mul_f32 v38, v48, v42 :: v_dual_fmac_f32 v16, v34, v43
	s_delay_alu instid0(VALU_DEP_4) | instskip(SKIP_1) | instid1(VALU_DEP_3)
	v_div_fixup_f32 v15, v15, v11, v18
	v_add_f32_e32 v12, v12, v20
	v_dual_fma_f32 v20, -v45, v40, v46 :: v_dual_fma_f32 v27, -v47, v38, v48
	s_mov_b32 vcc_lo, s2
	s_delay_alu instid0(VALU_DEP_3) | instskip(NEXT) | instid1(VALU_DEP_2)
	v_dual_add_f32 v10, v10, v15 :: v_dual_fmac_f32 v30, v35, v44
	v_fmac_f32_e32 v40, v20, v41
	s_delay_alu instid0(VALU_DEP_3) | instskip(SKIP_1) | instid1(VALU_DEP_4)
	v_dual_fma_f32 v18, -v22, v16, v28 :: v_dual_fmac_f32 v38, v27, v42
	v_mov_b32_dpp v27, v12 row_ror:8 row_mask:0xf bank_mask:0xf
	v_fma_f32 v22, -v37, v30, v39
	ds_swizzle_b32 v6, v5 offset:swizzle(BROADCAST,32,15)
	v_div_fmas_f32 v15, v18, v43, v16
	s_mov_b32 vcc_lo, s3
	v_dual_sub_f32 v12, v12, v27 :: v_dual_fma_f32 v16, -v45, v40, v46
	v_fma_f32 v18, -v47, v38, v48
	v_div_fmas_f32 v20, v22, v44, v30
	s_mov_b32 vcc_lo, s4
	v_div_fixup_f32 v28, v15, v11, v8
	v_div_fmas_f32 v8, v16, v41, v40
	v_mov_b32_dpp v16, v10 row_ror:8 row_mask:0xf bank_mask:0xf
	v_dual_mul_f32 v22, v10, v17 :: v_dual_mul_f32 v15, v12, v12
	s_mov_b32 vcc_lo, s1
	v_div_fixup_f32 v35, v20, v19, v9
	v_div_fmas_f32 v24, v36, v24, v52
	s_mov_b32 vcc_lo, s5
	v_div_fixup_f32 v14, v8, v31, v14
	v_pk_add_f32 v[8:9], v[10:11], v[16:17]
	v_dual_mul_f32 v30, v11, v12 :: v_dual_mul_f32 v34, 4.0, v12
	v_div_fmas_f32 v18, v18, v42, v38
	v_mul_f32_e32 v20, v11, v16
	v_dual_mul_f32 v31, v19, v16 :: v_dual_add_f32 v29, v29, v35
	v_dual_mul_f32 v16, v12, v15 :: v_dual_mul_f32 v36, v15, v17
	v_dual_mul_f32 v37, 0x40c00000, v15 :: v_dual_add_f32 v32, v32, v14
	v_pk_mul_f32 v[14:15], v[8:9], v[8:9]
	v_div_fixup_f32 v24, v24, v19, v26
	v_div_fixup_f32 v26, v18, v11, v13
	v_dual_fmac_f32 v31, v33, v10 :: v_dual_mul_f32 v10, v12, v16
	v_dual_mul_f32 v14, v11, v36 :: v_dual_mul_f32 v13, v16, v17
	v_div_scale_f32 v16, null, v9, v9, v30
	v_pk_add_f32 v[18:19], v[22:23], v[20:21] neg_lo:[0,1] neg_hi:[0,1]
	ds_swizzle_b32 v21, v9 offset:swizzle(BROADCAST,32,15)
	v_dual_add_f32 v22, v28, v29 :: v_dual_mul_f32 v28, v9, v15
	v_dual_mov_b32 v23, v9 :: v_dual_add_f32 v24, v24, v32
	v_mul_f32_e32 v10, v10, v17
	v_pk_mul_f32 v[12:13], v[2:3], v[12:13]
	v_mul_f32_e32 v29, v37, v31
	v_rcp_f32_e32 v31, v16
	v_div_scale_f32 v32, null, v9, v9, v14
	v_mov_b32_dpp v35, v22 row_ror:8 row_mask:0xf bank_mask:0xf
	v_dual_mov_b32 v3, v9 :: v_dual_mul_f32 v10, v11, v10
	v_add_f32_e32 v24, v26, v24
	v_pk_mul_f32 v[12:13], v[12:13], v[18:19]
	v_rcp_f32_e32 v18, v32
	v_dual_add_f32 v36, v22, v35 :: v_dual_mul_f32 v11, v11, v35
	v_fma_f32 v35, -v16, v31, 1.0
	v_div_scale_f32 v19, null, v15, v15, v29
	v_mov_b32_dpp v37, v24 row_ror:8 row_mask:0xf bank_mask:0xf
	s_delay_alu instid0(VALU_DEP_4)
	v_dual_mul_f32 v10, v25, v10 :: v_dual_fma_f32 v11, v22, v17, -v11
	v_div_scale_f32 v25, null, v9, v9, v12
	v_div_scale_f32 v20, vcc_lo, v30, v9, v30
	v_div_scale_f32 v39, null, v15, v15, v13
	v_dual_fmac_f32 v31, v35, v31 :: v_dual_add_f32 v22, v24, v37
	v_fma_f32 v17, -v32, v18, 1.0
	v_rcp_f32_e32 v41, v19
	v_rcp_f32_e32 v24, v25
	v_div_scale_f32 v33, s0, v14, v9, v14
	v_rcp_f32_e32 v35, v39
	s_wait_dscnt 0x0
	v_dual_mul_f32 v43, v21, v21 :: v_dual_mul_f32 v44, v20, v31
	v_dual_fmac_f32 v18, v17, v18 :: v_dual_mul_f32 v17, v34, v11
	v_div_scale_f32 v37, null, v28, v28, v10
	v_fma_f32 v11, -v19, v41, 1.0
	s_delay_alu instid0(VALU_DEP_3)
	v_dual_fma_f32 v45, -v16, v44, v20 :: v_dual_mul_f32 v46, v33, v18
	v_fma_f32 v47, -v25, v24, 1.0
	v_fma_f32 v48, -v39, v35, 1.0
	v_rcp_f32_e32 v34, v37
	v_div_scale_f32 v26, s1, v29, v15, v29
	v_div_scale_f32 v38, s2, v12, v9, v12
	v_dual_fmac_f32 v41, v11, v41 :: v_dual_fmac_f32 v44, v45, v31
	v_div_scale_f32 v11, null, v9, v9, v17
	v_dual_fma_f32 v45, -v32, v46, v33 :: v_dual_fmac_f32 v24, v47, v24
	v_div_scale_f32 v40, s3, v13, v15, v13
	s_delay_alu instid0(VALU_DEP_4) | instskip(SKIP_3) | instid1(VALU_DEP_3)
	v_dual_fmac_f32 v35, v48, v35 :: v_dual_mul_f32 v48, v26, v41
	v_fma_f32 v47, -v37, v34, 1.0
	v_rcp_f32_e32 v50, v11
	v_dual_fma_f32 v16, -v16, v44, v20 :: v_dual_fmac_f32 v46, v45, v18
	v_dual_mul_f32 v20, v38, v24 :: v_dual_mul_f32 v45, v40, v35
	v_div_scale_f32 v42, s4, v10, v28, v10
	v_fmac_f32_e32 v34, v47, v34
	v_fma_f32 v47, -v19, v48, v26
	v_div_fmas_f32 v16, v16, v31, v44
	v_dual_fma_f32 v31, -v32, v46, v33 :: v_dual_fma_f32 v32, -v25, v20, v38
	v_fma_f32 v33, -v39, v45, v40
	v_fma_f32 v51, -v11, v50, 1.0
	s_mov_b32 vcc_lo, s0
	v_dual_fmac_f32 v48, v47, v41 :: v_dual_mul_f32 v44, v42, v34
	v_fmac_f32_e32 v20, v32, v24
	v_div_fmas_f32 v18, v31, v18, v46
	v_dual_fmac_f32 v50, v51, v50 :: v_dual_fmac_f32 v45, v33, v35
	s_mov_b32 vcc_lo, s2
	v_div_scale_f32 v49, s5, v17, v9, v17
	s_delay_alu instid0(VALU_DEP_3) | instskip(NEXT) | instid1(VALU_DEP_3)
	v_div_fixup_f32 v14, v18, v9, v14
	v_dual_fma_f32 v18, -v25, v20, v38 :: v_dual_fma_f32 v25, -v39, v45, v40
	v_div_fixup_f32 v16, v16, v9, v30
	s_delay_alu instid0(VALU_DEP_3) | instskip(NEXT) | instid1(VALU_DEP_3)
	v_dual_fma_f32 v30, -v37, v44, v42 :: v_dual_add_f32 v8, v8, v14
	v_div_fmas_f32 v14, v18, v24, v20
	s_mov_b32 vcc_lo, s3
	v_dual_fma_f32 v19, -v19, v48, v26 :: v_dual_mul_f32 v26, v49, v50
	v_div_fmas_f32 v25, v25, v35, v45
	v_add_f32_e32 v16, v16, v27
	s_mov_b32 vcc_lo, s4
	v_div_fixup_f32 v12, v14, v9, v12
	s_delay_alu instid0(VALU_DEP_3) | instskip(SKIP_3) | instid1(VALU_DEP_1)
	v_div_fixup_f32 v13, v25, v15, v13
	v_fmac_f32_e32 v44, v30, v34
	ds_swizzle_b32 v24, v16 offset:swizzle(BROADCAST,32,15)
	v_dual_add_f32 v13, v36, v13 :: v_dual_fma_f32 v27, -v11, v26, v49
	v_dual_fma_f32 v18, -v37, v44, v42 :: v_dual_add_f32 v25, v12, v13
	s_delay_alu instid0(VALU_DEP_2) | instskip(NEXT) | instid1(VALU_DEP_2)
	v_fmac_f32_e32 v26, v27, v50
	v_div_fmas_f32 v18, v18, v34, v44
	s_mov_b32 vcc_lo, s1
	v_div_fmas_f32 v19, v19, v41, v48
	s_delay_alu instid0(VALU_DEP_3) | instskip(NEXT) | instid1(VALU_DEP_3)
	v_fma_f32 v11, -v11, v26, v49
	v_div_fixup_f32 v10, v18, v28, v10
	s_mov_b32 vcc_lo, s5
	s_delay_alu instid0(VALU_DEP_3) | instskip(SKIP_4) | instid1(VALU_DEP_2)
	v_div_fixup_f32 v14, v19, v15, v29
	v_fma_f32 v19, -v9, v21, v43
	ds_swizzle_b32 v20, v8 offset:swizzle(BROADCAST,32,15)
	v_div_fmas_f32 v18, v11, v50, v26
	v_dual_add_f32 v10, v22, v10 :: v_dual_mov_b32 v11, v21
	v_div_fixup_f32 v13, v18, v9, v17
	s_delay_alu instid0(VALU_DEP_2)
	v_dual_add_f32 v18, v15, v19 :: v_dual_add_f32 v14, v14, v10
	v_mul_f32_e32 v10, v8, v21
	s_wait_dscnt 0x1
	v_sub_f32_e32 v12, v16, v24
	ds_swizzle_b32 v19, v25 offset:swizzle(BROADCAST,32,15)
	v_dual_add_f32 v26, v13, v14 :: v_dual_mul_f32 v13, v12, v12
	v_mul_f32_e32 v27, v9, v12
	ds_swizzle_b32 v28, v26 offset:swizzle(BROADCAST,32,15)
	s_wait_dscnt 0x2
	v_pk_add_f32 v[16:17], v[8:9], v[20:21]
	v_dual_mul_f32 v22, v9, v20 :: v_dual_mul_f32 v20, v15, v20
	s_delay_alu instid0(VALU_DEP_2) | instskip(NEXT) | instid1(VALU_DEP_2)
	v_pk_mul_f32 v[14:15], v[16:17], v[16:17]
	v_dual_mul_f32 v14, v12, v13 :: v_dual_fmac_f32 v20, v43, v8
	v_mul_f32_e32 v31, v13, v21
	v_div_scale_f32 v29, null, v17, v17, v27
	v_pk_add_f32 v[10:11], v[10:11], v[22:23] neg_lo:[0,1] neg_hi:[0,1]
	v_mul_f32_e32 v22, 0x40c00000, v13
	s_delay_alu instid0(VALU_DEP_4) | instskip(SKIP_2) | instid1(VALU_DEP_2)
	v_dual_mul_f32 v13, v14, v21 :: v_dual_mul_f32 v23, v9, v31
	v_dual_mul_f32 v8, v17, v15 :: v_dual_mul_f32 v14, v12, v14
	v_rcp_f32_e32 v31, v29
	v_pk_mul_f32 v[2:3], v[2:3], v[12:13]
	s_delay_alu instid0(VALU_DEP_3) | instskip(NEXT) | instid1(VALU_DEP_3)
	v_div_scale_f32 v32, null, v17, v17, v23
	v_mul_f32_e32 v14, v14, v21
	v_mul_f32_e32 v13, v22, v20
	s_delay_alu instid0(VALU_DEP_4) | instskip(NEXT) | instid1(VALU_DEP_4)
	v_pk_mul_f32 v[2:3], v[2:3], v[10:11]
	v_rcp_f32_e32 v22, v32
	v_fma_f32 v20, -v29, v31, 1.0
	v_div_scale_f32 v30, vcc_lo, v27, v17, v27
	v_div_scale_f32 v10, s0, v23, v17, v23
	s_delay_alu instid0(VALU_DEP_3) | instskip(NEXT) | instid1(TRANS32_DEP_1)
	v_dual_fmac_f32 v31, v20, v31 :: v_dual_mul_f32 v11, v9, v14
	v_fma_f32 v20, -v32, v22, 1.0
	v_div_scale_f32 v14, null, v17, v17, v2
	v_div_scale_f32 v33, null, v15, v15, v3
	s_delay_alu instid0(VALU_DEP_3) | instskip(NEXT) | instid1(VALU_DEP_3)
	v_dual_mul_f32 v11, v18, v11 :: v_dual_fmac_f32 v22, v20, v22
	v_rcp_f32_e32 v34, v14
	s_delay_alu instid0(VALU_DEP_2) | instskip(SKIP_1) | instid1(VALU_DEP_2)
	v_rcp_f32_e32 v20, v33
	v_div_scale_f32 v39, s1, v2, v17, v2
	v_mul_f32_e32 v37, v10, v22
	v_mul_f32_e32 v18, v30, v31
	v_div_scale_f32 v35, null, v8, v8, v11
	s_delay_alu instid0(TRANS32_DEP_2) | instskip(NEXT) | instid1(TRANS32_DEP_1)
	v_fma_f32 v38, -v14, v34, 1.0
	v_fma_f32 v40, -v33, v20, 1.0
	s_delay_alu instid0(VALU_DEP_4) | instskip(SKIP_2) | instid1(VALU_DEP_3)
	v_fma_f32 v36, -v29, v18, v30
	s_wait_dscnt 0x1
	v_dual_mul_f32 v9, v9, v19 :: v_dual_mul_f32 v12, 4.0, v12
	v_dual_fmac_f32 v34, v38, v34 :: v_dual_fmac_f32 v20, v40, v20
	s_delay_alu instid0(VALU_DEP_3) | instskip(SKIP_3) | instid1(VALU_DEP_3)
	v_fmac_f32_e32 v18, v36, v31
	v_fma_f32 v36, -v32, v37, v10
	v_rcp_f32_e32 v38, v35
	v_add_f32_e32 v19, v25, v19
	v_fma_f32 v29, -v29, v18, v30
	s_delay_alu instid0(VALU_DEP_3) | instskip(SKIP_1) | instid1(TRANS32_DEP_1)
	v_fmac_f32_e32 v37, v36, v22
	v_mul_f32_e32 v30, v39, v34
	v_fma_f32 v36, -v35, v38, 1.0
	s_delay_alu instid0(VALU_DEP_4) | instskip(NEXT) | instid1(VALU_DEP_3)
	v_div_fmas_f32 v18, v29, v31, v18
	v_dual_fma_f32 v10, -v32, v37, v10 :: v_dual_fma_f32 v29, -v14, v30, v39
	v_div_scale_f32 v31, null, v15, v15, v13
	v_div_scale_f32 v32, s2, v3, v15, v3
	v_fma_f32 v9, v25, v21, -v9
	s_delay_alu instid0(VALU_DEP_3) | instskip(NEXT) | instid1(VALU_DEP_2)
	v_rcp_f32_e32 v21, v31
	v_dual_fmac_f32 v30, v29, v34 :: v_dual_mul_f32 v29, v32, v20
	v_fmac_f32_e32 v38, v36, v38
	s_delay_alu instid0(VALU_DEP_3) | instskip(SKIP_1) | instid1(TRANS32_DEP_1)
	v_mul_f32_e32 v9, v12, v9
	v_div_scale_f32 v12, s3, v11, v8, v11
	v_fma_f32 v36, -v31, v21, 1.0
	v_fma_f32 v40, -v33, v29, v32
	s_delay_alu instid0(VALU_DEP_4) | instskip(NEXT) | instid1(VALU_DEP_3)
	v_div_scale_f32 v41, null, v17, v17, v9
	v_dual_fma_f32 v14, -v14, v30, v39 :: v_dual_fmac_f32 v21, v36, v21
	s_delay_alu instid0(VALU_DEP_3) | instskip(NEXT) | instid1(VALU_DEP_3)
	v_fmac_f32_e32 v29, v40, v20
	v_rcp_f32_e32 v43, v41
	v_mul_f32_e32 v42, v12, v38
	s_mov_b32 vcc_lo, s0
	v_div_scale_f32 v36, s4, v13, v15, v13
	v_div_fmas_f32 v10, v10, v22, v37
	s_mov_b32 vcc_lo, s1
	s_delay_alu instid0(TRANS32_DEP_1)
	v_fma_f32 v39, -v41, v43, 1.0
	v_div_fmas_f32 v14, v14, v34, v30
	v_fma_f32 v30, -v33, v29, v32
	v_dual_fma_f32 v22, -v35, v42, v12 :: v_dual_mul_f32 v37, v36, v21
	v_div_scale_f32 v32, s0, v9, v17, v9
	s_mov_b32 vcc_lo, s2
	v_dual_fmac_f32 v42, v22, v38 :: v_dual_fmac_f32 v43, v39, v43
	v_fma_f32 v22, -v31, v37, v36
	v_div_fmas_f32 v20, v30, v20, v29
	s_mov_b32 vcc_lo, s3
	s_delay_alu instid0(VALU_DEP_3) | instskip(NEXT) | instid1(VALU_DEP_3)
	v_dual_fma_f32 v12, -v35, v42, v12 :: v_dual_mul_f32 v29, v32, v43
	v_fmac_f32_e32 v37, v22, v21
	s_wait_dscnt 0x0
	v_add_f32_e32 v25, v26, v28
	v_div_fixup_f32 v3, v20, v15, v3
	v_div_fmas_f32 v12, v12, v38, v42
	v_fma_f32 v22, -v41, v29, v32
	v_fma_f32 v26, -v31, v37, v36
	s_mov_b32 vcc_lo, s4
	v_add_f32_e32 v3, v19, v3
	v_div_fixup_f32 v8, v12, v8, v11
	v_fmac_f32_e32 v29, v22, v43
	v_div_fmas_f32 v11, v26, v21, v37
	v_div_fixup_f32 v12, v18, v17, v27
	s_mov_b32 vcc_lo, s0
	v_div_fixup_f32 v10, v10, v17, v23
	v_fma_f32 v18, -v41, v29, v32
	v_div_fixup_f32 v11, v11, v15, v13
	v_div_fixup_f32 v2, v14, v17, v2
	s_mov_b32 s0, exec_lo
	s_delay_alu instid0(VALU_DEP_3) | instskip(SKIP_2) | instid1(VALU_DEP_3)
	v_div_fmas_f32 v13, v18, v43, v29
	v_cmp_gt_f32_e32 vcc_lo, v5, v6
	v_add_f32_e32 v8, v25, v8
	v_div_fixup_f32 v9, v13, v17, v9
	s_delay_alu instid0(VALU_DEP_2)
	v_dual_cndmask_b32 v5, v6, v5 :: v_dual_add_f32 v8, v11, v8
	v_dual_add_f32 v6, v12, v24 :: v_dual_add_f32 v13, v2, v3
	v_add_f32_e32 v12, v16, v10
	ds_bpermute_b32 v2, v4, v17 offset:124
	v_add_f32_e32 v8, v9, v8
	ds_bpermute_b32 v3, v4, v7 offset:124
	ds_bpermute_b32 v10, v4, v5 offset:124
	;; [unrolled: 1-line block ×6, first 2 shown]
	v_cmpx_eq_u32_e32 0, v1
	s_cbranch_execz .LBB18_3
; %bb.2:
	v_lshrrev_b32_e32 v4, 5, v0
	s_delay_alu instid0(VALU_DEP_1)
	v_mul_u32_u24_e32 v4, 28, v4
	s_wait_dscnt 0x5
	ds_store_2addr_b32 v4, v2, v3 offset0:56 offset1:57
	s_wait_dscnt 0x4
	ds_store_2addr_b32 v4, v10, v11 offset0:58 offset1:59
	;; [unrolled: 2-line block ×3, first 2 shown]
	s_wait_dscnt 0x3
	ds_store_b32 v4, v12 offset:248
.LBB18_3:
	s_or_b32 exec_lo, exec_lo, s0
	s_delay_alu instid0(SALU_CYCLE_1)
	s_mov_b32 s5, exec_lo
	s_wait_dscnt 0x0
	s_barrier_signal -1
	s_barrier_wait -1
	v_cmpx_gt_u32_e32 32, v0
	s_cbranch_execz .LBB18_5
; %bb.4:
	v_dual_lshlrev_b32 v26, 2, v1 :: v_dual_bitop2_b32 v4, 7, v1 bitop3:0x40
	s_delay_alu instid0(VALU_DEP_1) | instskip(SKIP_1) | instid1(VALU_DEP_1)
	v_cmp_ne_u32_e32 vcc_lo, 7, v4
	v_add_co_ci_u32_e64 v2, null, 0, v1, vcc_lo
	v_lshlrev_b32_e32 v11, 2, v2
	v_mul_u32_u24_e32 v5, 28, v4
	ds_load_2addr_b32 v[14:15], v5 offset0:56 offset1:57
	ds_load_2addr_b32 v[8:9], v5 offset0:58 offset1:59
	v_cmp_gt_u32_e32 vcc_lo, 6, v4
	ds_load_2addr_b32 v[16:17], v5 offset0:60 offset1:61
	ds_load_b32 v25, v5 offset:248
	v_mov_b32_e32 v24, 0x40400000
	v_or_b32_e32 v51, 16, v26
	v_cndmask_b32_e64 v4, 0, 2, vcc_lo
	s_delay_alu instid0(VALU_DEP_1)
	v_add_lshl_u32 v50, v4, v1, 2
	s_wait_dscnt 0x3
	ds_bpermute_b32 v19, v11, v14
	s_wait_dscnt 0x3
	ds_bpermute_b32 v18, v11, v9
	v_dual_mov_b32 v2, v9 :: v_dual_mov_b32 v3, v14
	ds_bpermute_b32 v28, v11, v15
	ds_bpermute_b32 v30, v11, v8
	s_wait_dscnt 0x4
	ds_bpermute_b32 v31, v11, v25
	ds_bpermute_b32 v13, v11, v16
	s_wait_dscnt 0x5
	v_dual_mov_b32 v27, v14 :: v_dual_mov_b32 v37, v19
	s_wait_dscnt 0x4
	v_pk_add_f32 v[20:21], v[18:19], v[2:3] neg_lo:[0,1] neg_hi:[0,1]
	v_pk_add_f32 v[6:7], v[2:3], v[18:19]
	v_pk_mul_f32 v[32:33], v[18:19], v[18:19]
	s_delay_alu instid0(VALU_DEP_3) | instskip(SKIP_1) | instid1(VALU_DEP_3)
	v_dual_mov_b32 v32, v19 :: v_dual_mul_f32 v2, v20, v19
	s_wait_dscnt 0x1
	v_dual_add_f32 v54, v25, v31 :: v_dual_mov_b32 v23, v7
	s_wait_dscnt 0x0
	v_dual_mul_f32 v26, v14, v13 :: v_dual_mov_b32 v42, v20
	v_div_scale_f32 v3, null, v7, v7, v2
	v_mov_b32_e32 v18, v20
	s_delay_alu instid0(VALU_DEP_2) | instskip(SKIP_1) | instid1(TRANS32_DEP_1)
	v_rcp_f32_e32 v6, v3
	v_nop
	v_fma_f32 v10, -v3, v6, 1.0
	s_delay_alu instid0(VALU_DEP_1) | instskip(SKIP_3) | instid1(VALU_DEP_1)
	v_fmac_f32_e32 v6, v10, v6
	v_div_scale_f32 v12, vcc_lo, v2, v7, v2
	ds_bpermute_b32 v10, v50, v7
	v_mul_f32_e32 v4, v12, v6
	v_fma_f32 v5, -v3, v4, v12
	s_delay_alu instid0(VALU_DEP_1) | instskip(NEXT) | instid1(VALU_DEP_1)
	v_fmac_f32_e32 v4, v5, v6
	v_fma_f32 v3, -v3, v4, v12
	ds_bpermute_b32 v12, v11, v17
	s_wait_dscnt 0x1
	v_mov_b32_e32 v5, v10
	v_div_fmas_f32 v3, v3, v6, v4
	v_dual_mov_b32 v4, v9 :: v_dual_mov_b32 v6, v17
	v_cmp_gt_f32_e32 vcc_lo, v15, v28
	v_mov_b32_e32 v29, v14
	s_delay_alu instid0(VALU_DEP_4) | instskip(SKIP_3) | instid1(VALU_DEP_4)
	v_div_fixup_f32 v22, v3, v7, v2
	v_mov_b64_e32 v[2:3], 0x40c0000040800000
	v_cndmask_b32_e32 v52, v15, v28, vcc_lo
	v_cmp_lt_f32_e32 vcc_lo, v8, v30
	v_pk_add_f32 v[4:5], v[4:5], v[22:23]
	v_dual_mul_f32 v23, v14, v14 :: v_dual_mov_b32 v22, v14
	v_dual_mov_b32 v15, v7 :: v_dual_cndmask_b32 v53, v8, v30, vcc_lo
	v_mov_b32_e32 v8, v19
	ds_bpermute_b32 v9, v50, v4
	v_dual_fma_f32 v11, -v14, v19, v23 :: v_dual_mov_b32 v31, v7
	s_wait_dscnt 0x1
	v_pk_add_f32 v[34:35], v[6:7], v[12:13]
	v_dual_mov_b32 v6, v20 :: v_dual_mov_b32 v30, v19
	s_delay_alu instid0(VALU_DEP_3) | instskip(SKIP_2) | instid1(VALU_DEP_2)
	v_add_f32_e32 v55, v33, v11
	v_pk_mul_f32 v[32:33], v[16:17], v[32:33] op_sel:[1,0] op_sel_hi:[0,1]
	v_dual_mov_b32 v11, v7 :: v_dual_sub_f32 v36, v7, v10
	v_pk_fma_f32 v[22:23], v[22:23], v[12:13], v[32:33]
	v_pk_fma_f32 v[32:33], v[14:15], v[12:13], v[32:33] neg_lo:[0,0,1] neg_hi:[0,0,1]
	s_wait_dscnt 0x0
	s_delay_alu instid0(VALU_DEP_2)
	v_dual_mov_b32 v33, v23 :: v_dual_sub_f32 v38, v9, v4
	ds_bpermute_b32 v9, v51, v5
	v_mul_f32_e32 v39, v38, v38
	v_mul_f32_e32 v56, v38, v10
	s_wait_dscnt 0x0
	v_pk_mul_f32 v[40:41], v[16:17], v[8:9]
	s_delay_alu instid0(VALU_DEP_3) | instskip(SKIP_1) | instid1(VALU_DEP_2)
	v_dual_mov_b32 v41, v19 :: v_dual_mul_f32 v43, v38, v39
	v_dual_mov_b32 v8, v5 :: v_dual_mov_b32 v28, v10
	v_pk_add_f32 v[26:27], v[26:27], v[40:41] neg_lo:[0,1] neg_hi:[0,1]
	s_delay_alu instid0(VALU_DEP_3) | instskip(SKIP_1) | instid1(VALU_DEP_4)
	v_pk_mul_f32 v[22:23], v[6:7], v[42:43]
	v_pk_mul_f32 v[40:41], v[10:11], v[10:11] op_sel_hi:[1,0]
	v_pk_mul_f32 v[46:47], v[4:5], v[8:9] op_sel:[1,0]
	s_delay_alu instid0(VALU_DEP_3) | instskip(SKIP_1) | instid1(VALU_DEP_2)
	v_pk_mul_f32 v[44:45], v[6:7], v[22:23]
	v_mul_f32_e32 v6, v7, v39
	v_pk_mul_f32 v[48:49], v[20:21], v[44:45]
	v_dual_mov_b32 v49, v7 :: v_dual_mov_b32 v21, v22
	s_delay_alu instid0(VALU_DEP_3) | instskip(SKIP_1) | instid1(VALU_DEP_3)
	v_mul_f32_e32 v45, v6, v10
	v_div_scale_f32 v12, null, v5, v5, v56
	v_pk_mul_f32 v[48:49], v[14:15], v[48:49]
	v_mul_f32_e32 v25, v14, v44
	v_pk_mul_f32 v[14:15], v[28:29], v[22:23] op_sel:[0,1] op_sel_hi:[1,0]
	s_delay_alu instid0(VALU_DEP_4) | instskip(NEXT) | instid1(VALU_DEP_3)
	v_rcp_f32_e32 v57, v12
	v_pk_mul_f32 v[22:23], v[48:49], v[30:31]
	v_mul_f32_e32 v17, v38, v43
	s_delay_alu instid0(VALU_DEP_3) | instskip(SKIP_1) | instid1(VALU_DEP_4)
	v_pk_mul_f32 v[14:15], v[14:15], v[36:37]
	v_mov_b32_e32 v48, v7
	v_dual_mul_f32 v22, v55, v22 :: v_dual_mov_b32 v43, v46
	s_delay_alu instid0(VALU_DEP_4) | instskip(SKIP_1) | instid1(VALU_DEP_3)
	v_mul_f32_e32 v6, v7, v17
	v_fma_f32 v17, -v12, v57, 1.0
	v_div_scale_f32 v36, vcc_lo, v22, v23, v22
	s_delay_alu instid0(VALU_DEP_3) | instskip(SKIP_1) | instid1(VALU_DEP_2)
	v_dual_mul_f32 v42, v6, v10 :: v_dual_sub_f32 v6, v49, v41
	v_pk_mul_f32 v[18:19], v[24:25], v[18:19]
	v_pk_fma_f32 v[24:25], v[10:11], v[10:11], v[6:7] op_sel_hi:[1,0,0]
	s_delay_alu instid0(VALU_DEP_2) | instskip(SKIP_3) | instid1(VALU_DEP_4)
	v_pk_mul_f32 v[18:19], v[18:19], v[26:27]
	v_div_scale_f32 v26, null, v23, v23, v22
	v_mov_b32_e32 v25, v5
	v_pk_mul_f32 v[20:21], v[20:21], v[2:3]
	v_div_scale_f32 v27, null, v49, v49, v19
	s_delay_alu instid0(VALU_DEP_4) | instskip(SKIP_1) | instid1(VALU_DEP_2)
	v_rcp_f32_e32 v29, v26
	v_div_scale_f32 v28, null, v7, v7, v18
	v_rcp_f32_e32 v30, v27
	v_pk_mul_f32 v[20:21], v[20:21], v[32:33]
	v_pk_mul_f32 v[24:25], v[24:25], v[42:43]
	s_delay_alu instid0(VALU_DEP_3) | instskip(NEXT) | instid1(TRANS32_DEP_3)
	v_rcp_f32_e32 v6, v28
	v_fma_f32 v11, -v26, v29, 1.0
	s_delay_alu instid0(VALU_DEP_3) | instskip(NEXT) | instid1(TRANS32_DEP_2)
	v_div_scale_f32 v31, null, v49, v49, v21
	v_fma_f32 v33, -v27, v30, 1.0
	s_delay_alu instid0(VALU_DEP_3) | instskip(SKIP_1) | instid1(VALU_DEP_4)
	v_fmac_f32_e32 v29, v11, v29
	v_div_scale_f32 v11, s0, v19, v49, v19
	v_rcp_f32_e32 v32, v31
	s_delay_alu instid0(VALU_DEP_3) | instskip(SKIP_1) | instid1(VALU_DEP_2)
	v_fmac_f32_e32 v30, v33, v30
	v_fma_f32 v33, -v28, v6, 1.0
	v_dual_mul_f32 v37, v36, v29 :: v_dual_mul_f32 v42, v11, v30
	v_fmac_f32_e32 v57, v17, v57
	s_delay_alu instid0(VALU_DEP_2) | instskip(NEXT) | instid1(TRANS32_DEP_1)
	v_dual_fmac_f32 v6, v33, v6 :: v_dual_fma_f32 v17, -v26, v37, v36
	v_fma_f32 v41, -v31, v32, 1.0
	s_delay_alu instid0(VALU_DEP_4) | instskip(NEXT) | instid1(VALU_DEP_1)
	v_fma_f32 v33, -v27, v42, v11
	v_fmac_f32_e32 v42, v33, v30
	s_delay_alu instid0(VALU_DEP_3) | instskip(SKIP_2) | instid1(VALU_DEP_4)
	v_fmac_f32_e32 v32, v41, v32
	v_div_scale_f32 v33, s2, v18, v7, v18
	v_div_scale_f32 v41, s1, v56, v5, v56
	v_dual_fma_f32 v11, -v27, v42, v11 :: v_dual_fmac_f32 v37, v17, v29
	v_div_scale_f32 v17, null, v5, v5, v45
	s_delay_alu instid0(VALU_DEP_2) | instskip(SKIP_1) | instid1(VALU_DEP_2)
	v_fma_f32 v26, -v26, v37, v36
	v_div_scale_f32 v36, s3, v21, v49, v21
	v_div_fmas_f32 v37, v26, v29, v37
	s_delay_alu instid0(VALU_DEP_2) | instskip(SKIP_3) | instid1(VALU_DEP_2)
	v_mul_f32_e32 v26, v36, v32
	s_mov_b32 vcc_lo, s0
	v_div_fmas_f32 v11, v11, v30, v42
	s_mov_b32 vcc_lo, s2
	v_fma_f32 v30, -v31, v26, v36
	v_mul_f32_e32 v27, v33, v6
	v_div_scale_f32 v42, s0, v45, v5, v45
	v_div_fixup_f32 v19, v11, v49, v19
	s_delay_alu instid0(VALU_DEP_3) | instskip(SKIP_2) | instid1(VALU_DEP_3)
	v_dual_fmac_f32 v26, v30, v32 :: v_dual_fma_f32 v29, -v28, v27, v33
	v_div_scale_f32 v30, null, v7, v7, v15
	v_div_fixup_f32 v37, v37, v23, v22
	v_dual_fma_f32 v31, -v31, v26, v36 :: v_dual_mul_f32 v36, v41, v57
	s_delay_alu instid0(VALU_DEP_4) | instskip(SKIP_1) | instid1(VALU_DEP_1)
	v_fmac_f32_e32 v27, v29, v6
	v_rcp_f32_e32 v29, v17
	v_fma_f32 v28, -v28, v27, v33
	v_div_scale_f32 v33, null, v46, v46, v14
	s_delay_alu instid0(VALU_DEP_2) | instskip(SKIP_1) | instid1(TRANS32_DEP_2)
	v_div_fmas_f32 v6, v28, v6, v27
	v_rcp_f32_e32 v28, v30
	v_fma_f32 v27, -v17, v29, 1.0
	s_mov_b32 vcc_lo, s3
	v_rcp_f32_e32 v11, v33
	v_div_fmas_f32 v43, v31, v32, v26
	v_div_fixup_f32 v18, v6, v7, v18
	v_dual_mov_b32 v6, v19 :: v_dual_fma_f32 v26, -v12, v36, v41
	v_fma_f32 v32, -v30, v28, 1.0
	v_fmac_f32_e32 v29, v27, v29
	v_div_scale_f32 v31, null, v7, v7, v20
	s_delay_alu instid0(VALU_DEP_4) | instskip(SKIP_1) | instid1(VALU_DEP_4)
	v_fmac_f32_e32 v36, v26, v57
	v_pk_add_f32 v[26:27], v[34:35], v[6:7]
	v_dual_fmac_f32 v28, v32, v28 :: v_dual_mul_f32 v6, v42, v29
	s_delay_alu instid0(VALU_DEP_4) | instskip(SKIP_1) | instid1(VALU_DEP_3)
	v_rcp_f32_e32 v34, v31
	v_div_fixup_f32 v21, v43, v49, v21
	v_pk_add_f32 v[18:19], v[18:19], v[26:27]
	v_div_scale_f32 v19, s3, v14, v46, v14
	v_dual_fma_f32 v32, -v17, v6, v42 :: v_dual_fma_f32 v35, -v12, v36, v41
	v_fma_f32 v12, -v33, v11, 1.0
	s_delay_alu instid0(VALU_DEP_2) | instskip(SKIP_1) | instid1(VALU_DEP_3)
	v_fmac_f32_e32 v6, v32, v29
	v_div_scale_f32 v32, s2, v15, v7, v15
	v_fmac_f32_e32 v11, v12, v11
	v_fma_f32 v12, -v31, v34, 1.0
	s_delay_alu instid0(VALU_DEP_3) | instskip(NEXT) | instid1(VALU_DEP_2)
	v_dual_mul_f32 v41, v32, v28 :: v_dual_fma_f32 v17, -v17, v6, v42
	v_dual_fmac_f32 v34, v12, v34 :: v_dual_mul_f32 v27, v19, v11
	s_delay_alu instid0(VALU_DEP_2) | instskip(NEXT) | instid1(VALU_DEP_1)
	v_fma_f32 v12, -v30, v41, v32
	v_dual_fmac_f32 v41, v12, v28 :: v_dual_fma_f32 v12, -v33, v27, v19
	s_delay_alu instid0(VALU_DEP_1)
	v_dual_fma_f32 v30, -v30, v41, v32 :: v_dual_fmac_f32 v27, v12, v11
	v_div_scale_f32 v12, vcc_lo, v20, v7, v20
	ds_bpermute_b32 v32, v50, v52
	v_dual_mul_f32 v26, v12, v34 :: v_dual_fma_f32 v19, -v33, v27, v19
	ds_bpermute_b32 v33, v50, v53
	v_fma_f32 v44, -v31, v26, v12
	s_delay_alu instid0(VALU_DEP_1) | instskip(NEXT) | instid1(VALU_DEP_1)
	v_fmac_f32_e32 v26, v44, v34
	v_fma_f32 v31, -v31, v26, v12
	ds_bpermute_b32 v12, v50, v18
	v_div_fmas_f32 v34, v31, v34, v26
	s_mov_b32 vcc_lo, s1
	v_mov_b32_e32 v26, v7
	v_div_fmas_f32 v35, v35, v57, v36
	s_mov_b32 vcc_lo, s0
	v_div_fmas_f32 v36, v17, v29, v6
	s_mov_b32 vcc_lo, s2
	v_mov_b32_e32 v29, v5
	v_div_fmas_f32 v6, v30, v28, v41
	s_mov_b32 vcc_lo, s3
	v_div_scale_f32 v41, null, v25, v25, v24
	v_div_fmas_f32 v11, v19, v11, v27
	v_mov_b32_e32 v19, v16
	v_div_fixup_f32 v15, v6, v7, v15
	s_wait_dscnt 0x2
	v_cmp_gt_f32_e32 vcc_lo, v52, v32
	v_mov_b32_e32 v6, v47
	v_div_fixup_f32 v14, v11, v46, v14
	s_wait_dscnt 0x0
	v_pk_add_f32 v[16:17], v[18:19], v[12:13]
	v_cndmask_b32_e32 v42, v52, v32, vcc_lo
	v_rcp_f32_e32 v52, v41
	v_cmp_lt_f32_e32 vcc_lo, v53, v33
	s_delay_alu instid0(VALU_DEP_3)
	v_pk_add_f32 v[14:15], v[16:17], v[14:15]
	v_mov_b32_e32 v17, v10
	v_pk_fma_f32 v[30:31], v[4:5], v[8:9], v[6:7] op_sel:[1,0,0] neg_lo:[0,0,1] neg_hi:[0,0,1]
	v_mov_b32_e32 v31, v9
	v_cndmask_b32_e32 v44, v53, v33, vcc_lo
	ds_bpermute_b32 v16, v50, v15
	v_fma_f32 v11, -v41, v52, 1.0
	v_mul_f32_e32 v28, v9, v9
	v_div_scale_f32 v8, vcc_lo, v24, v25, v24
	v_dual_mov_b32 v19, v40 :: v_dual_mov_b32 v27, v15
	s_delay_alu instid0(VALU_DEP_4)
	v_fmac_f32_e32 v52, v11, v52
	v_mul_f32_e32 v6, 0x40400000, v38
	v_pk_add_f32 v[30:31], v[28:29], v[30:31]
	v_mov_b32_e32 v11, v15
	v_pk_mul_f32 v[32:33], v[38:39], v[2:3]
	v_mul_f32_e32 v29, v8, v52
	ds_bpermute_b32 v53, v51, v42
	ds_bpermute_b32 v47, v51, v44
	v_pk_mul_f32 v[10:11], v[18:19], v[10:11]
	s_wait_dscnt 0x2
	v_dual_fma_f32 v38, -v41, v29, v8 :: v_dual_mov_b32 v13, v16
	v_pk_mul_f32 v[22:23], v[26:27], v[16:17]
	s_delay_alu instid0(VALU_DEP_2) | instskip(SKIP_4) | instid1(VALU_DEP_3)
	v_pk_fma_f32 v[18:19], v[48:49], v[12:13], v[10:11]
	v_div_fixup_f32 v18, v34, v7, v20
	v_div_fixup_f32 v20, v35, v5, v56
	v_add_f32_e32 v17, v54, v37
	v_fmac_f32_e32 v29, v38, v52
	v_dual_add_f32 v34, v4, v20 :: v_dual_sub_f32 v22, v22, v23
	s_delay_alu instid0(VALU_DEP_1) | instskip(SKIP_1) | instid1(VALU_DEP_4)
	v_mul_f32_e32 v22, v6, v22
	v_pk_fma_f32 v[6:7], v[48:49], v[12:13], v[10:11] neg_lo:[0,0,1] neg_hi:[0,0,1]
	v_dual_mov_b32 v7, v19 :: v_dual_fma_f32 v8, -v41, v29, v8
	v_add_f32_e32 v10, v21, v17
	s_delay_alu instid0(VALU_DEP_4) | instskip(NEXT) | instid1(VALU_DEP_3)
	v_div_scale_f32 v12, null, v5, v5, v22
	v_pk_mul_f32 v[6:7], v[32:33], v[6:7]
	ds_bpermute_b32 v11, v51, v34
	v_div_scale_f32 v26, s0, v22, v5, v22
	v_rcp_f32_e32 v13, v12
	v_div_scale_f32 v17, null, v5, v5, v6
	v_div_scale_f32 v35, s2, v7, v46, v7
	v_div_fmas_f32 v8, v8, v52, v29
	s_delay_alu instid0(VALU_DEP_3) | instskip(NEXT) | instid1(TRANS32_DEP_2)
	v_rcp_f32_e32 v21, v17
	v_fma_f32 v20, -v12, v13, 1.0
	v_add_f32_e32 v10, v18, v10
	v_div_scale_f32 v18, null, v46, v46, v7
	v_div_fixup_f32 v8, v8, v25, v24
	s_delay_alu instid0(VALU_DEP_4)
	v_fmac_f32_e32 v13, v20, v13
	ds_bpermute_b32 v19, v50, v10
	v_rcp_f32_e32 v23, v18
	v_fma_f32 v27, -v17, v21, 1.0
	v_div_scale_f32 v20, s1, v6, v5, v6
	s_wait_dscnt 0x1
	v_sub_f32_e32 v11, v11, v34
	s_mov_b32 vcc_lo, s0
	v_fmac_f32_e32 v21, v27, v21
	v_fma_f32 v32, -v18, v23, 1.0
	s_delay_alu instid0(VALU_DEP_1) | instskip(NEXT) | instid1(VALU_DEP_1)
	v_dual_mul_f32 v33, v26, v13 :: v_dual_fmac_f32 v23, v32, v23
	v_dual_fma_f32 v27, -v12, v33, v26 :: v_dual_mul_f32 v29, v35, v23
	s_delay_alu instid0(VALU_DEP_1) | instskip(SKIP_2) | instid1(VALU_DEP_2)
	v_fmac_f32_e32 v33, v27, v13
	s_wait_dscnt 0x0
	v_dual_mul_f32 v27, v20, v21 :: v_dual_add_f32 v10, v10, v19
	v_dual_mov_b32 v19, v5 :: v_dual_fma_f32 v12, -v12, v33, v26
	s_delay_alu instid0(VALU_DEP_2) | instskip(NEXT) | instid1(VALU_DEP_2)
	v_dual_fma_f32 v24, -v17, v27, v20 :: v_dual_add_f32 v8, v10, v8
	v_div_fmas_f32 v12, v12, v13, v33
	s_delay_alu instid0(VALU_DEP_2) | instskip(SKIP_2) | instid1(VALU_DEP_3)
	v_fmac_f32_e32 v27, v24, v21
	v_dual_fma_f32 v25, -v18, v29, v35 :: v_dual_mov_b32 v13, v16
	s_mov_b32 vcc_lo, s1
	v_div_fixup_f32 v12, v12, v5, v22
	s_delay_alu instid0(VALU_DEP_3) | instskip(NEXT) | instid1(VALU_DEP_3)
	v_dual_fma_f32 v16, -v17, v27, v20 :: v_dual_mul_f32 v37, v11, v9
	v_fmac_f32_e32 v29, v25, v23
	v_mov_b32_e32 v20, v9
	s_delay_alu instid0(VALU_DEP_4) | instskip(NEXT) | instid1(VALU_DEP_4)
	v_pk_add_f32 v[12:13], v[14:15], v[12:13]
	v_div_fmas_f32 v17, v16, v21, v27
	v_div_scale_f32 v26, null, v31, v31, v37
	v_fma_f32 v15, -v18, v29, v35
	s_mov_b32 vcc_lo, s2
	ds_bpermute_b32 v14, v51, v12
	v_rcp_f32_e32 v38, v26
	v_sub_f32_e32 v35, v5, v9
	v_div_fmas_f32 v15, v15, v23, v29
	v_div_fixup_f32 v17, v17, v5, v6
	v_div_scale_f32 v18, vcc_lo, v37, v31, v37
	v_mov_b32_e32 v6, v9
	s_delay_alu instid0(VALU_DEP_4) | instskip(SKIP_3) | instid1(VALU_DEP_3)
	v_div_fixup_f32 v7, v15, v46, v7
	v_fma_f32 v10, -v26, v38, 1.0
	v_div_fixup_f32 v15, v36, v5, v45
	v_dual_mov_b32 v23, v28 :: v_dual_mov_b32 v29, v31
	v_dual_add_f32 v7, v7, v8 :: v_dual_fmac_f32 v38, v10, v38
	v_dual_mov_b32 v22, v9 :: v_dual_mov_b32 v16, v5
	s_delay_alu instid0(VALU_DEP_2) | instskip(NEXT) | instid1(VALU_DEP_3)
	v_dual_mov_b32 v21, v31 :: v_dual_add_f32 v36, v17, v7
	v_mul_f32_e32 v39, v18, v38
	s_wait_dscnt 0x0
	v_pk_add_f32 v[24:25], v[12:13], v[14:15]
	v_dual_mov_b32 v7, v11 :: v_dual_mov_b32 v17, v46
	ds_bpermute_b32 v15, v51, v36
	v_dual_fma_f32 v8, -v26, v39, v18 :: v_dual_mov_b32 v10, v25
	ds_bpermute_b32 v27, v51, v25
	v_dual_mov_b32 v13, v25 :: v_dual_fmac_f32 v39, v8, v38
	v_pk_mul_f32 v[32:33], v[10:11], v[6:7]
	v_mul_f32_e32 v8, 0x40400000, v11
	s_delay_alu instid0(VALU_DEP_3) | instskip(NEXT) | instid1(VALU_DEP_3)
	v_pk_mul_f32 v[12:13], v[12:13], v[22:23]
	v_dual_fma_f32 v18, -v26, v39, v18 :: v_dual_mul_f32 v26, v11, v33
	s_delay_alu instid0(VALU_DEP_4) | instskip(NEXT) | instid1(VALU_DEP_2)
	v_pk_mul_f32 v[22:23], v[4:5], v[32:33]
	v_div_fmas_f32 v38, v18, v38, v39
	s_wait_dscnt 0x1
	s_delay_alu instid0(VALU_DEP_3) | instskip(SKIP_2) | instid1(VALU_DEP_2)
	v_dual_add_f32 v36, v36, v15 :: v_dual_mul_f32 v18, v5, v26
	v_dual_mul_f32 v26, v11, v26 :: v_dual_mov_b32 v32, v11
	s_wait_dscnt 0x0
	v_dual_mov_b32 v15, v27 :: v_dual_mul_f32 v4, v18, v9
	s_delay_alu instid0(VALU_DEP_2) | instskip(NEXT) | instid1(VALU_DEP_3)
	v_dual_mul_f32 v28, v5, v26 :: v_dual_mul_f32 v18, v5, v27
	v_pk_mul_f32 v[2:3], v[32:33], v[2:3]
	s_delay_alu instid0(VALU_DEP_2)
	v_pk_fma_f32 v[6:7], v[10:11], v[6:7], v[18:19] neg_lo:[1,0,0] neg_hi:[1,0,0]
	v_mov_b32_e32 v7, v23
	v_pk_fma_f32 v[10:11], v[16:17], v[14:15], v[12:13] neg_lo:[0,0,1] neg_hi:[0,0,1]
	v_pk_fma_f32 v[12:13], v[16:17], v[14:15], v[12:13]
	v_mul_f32_e32 v22, v35, v4
	v_pk_mul_f32 v[4:5], v[28:29], v[20:21]
	v_pk_mul_f32 v[6:7], v[6:7], v[8:9]
	s_delay_alu instid0(VALU_DEP_4) | instskip(NEXT) | instid1(VALU_DEP_3)
	v_mov_b32_e32 v11, v13
	v_div_scale_f32 v12, null, v5, v5, v22
	s_delay_alu instid0(VALU_DEP_4) | instskip(NEXT) | instid1(VALU_DEP_3)
	v_pk_mul_f32 v[14:15], v[30:31], v[4:5]
	v_pk_mul_f32 v[8:9], v[2:3], v[10:11]
	v_div_scale_f32 v2, null, v31, v31, v7
	s_delay_alu instid0(VALU_DEP_4) | instskip(NEXT) | instid1(VALU_DEP_3)
	v_rcp_f32_e32 v4, v12
	v_div_scale_f32 v13, null, v15, v15, v14
	v_div_scale_f32 v10, null, v31, v31, v6
	;; [unrolled: 1-line block ×3, first 2 shown]
	s_delay_alu instid0(VALU_DEP_3)
	v_rcp_f32_e32 v18, v13
	v_div_scale_f32 v21, null, v5, v5, v9
	v_rcp_f32_e32 v28, v2
	v_fma_f32 v23, -v12, v4, 1.0
	v_rcp_f32_e32 v29, v10
	v_rcp_f32_e32 v30, v19
	v_rcp_f32_e32 v32, v21
	v_div_scale_f32 v16, vcc_lo, v22, v5, v22
	v_fmac_f32_e32 v4, v23, v4
	v_fma_f32 v23, -v13, v18, 1.0
	v_fma_f32 v26, -v2, v28, 1.0
	;; [unrolled: 1-line block ×3, first 2 shown]
	v_div_scale_f32 v17, s0, v14, v15, v14
	v_div_scale_f32 v3, s1, v7, v31, v7
	v_dual_fmac_f32 v18, v23, v18 :: v_dual_mul_f32 v39, v16, v4
	s_delay_alu instid0(VALU_DEP_4) | instskip(SKIP_2) | instid1(VALU_DEP_4)
	v_fmac_f32_e32 v29, v35, v29
	v_fma_f32 v23, -v19, v30, 1.0
	v_fma_f32 v40, -v21, v32, 1.0
	v_dual_fmac_f32 v28, v26, v28 :: v_dual_mul_f32 v35, v17, v18
	v_div_scale_f32 v11, s2, v6, v31, v6
	v_div_scale_f32 v20, s3, v8, v31, v8
	;; [unrolled: 1-line block ×3, first 2 shown]
	v_dual_fma_f32 v26, -v12, v39, v16 :: v_dual_fmac_f32 v30, v23, v30
	s_delay_alu instid0(VALU_DEP_4) | instskip(SKIP_1) | instid1(VALU_DEP_3)
	v_dual_fmac_f32 v32, v40, v32 :: v_dual_mul_f32 v40, v11, v29
	v_mul_f32_e32 v23, v3, v28
	v_dual_fmac_f32 v39, v26, v4 :: v_dual_mul_f32 v41, v20, v30
	v_fma_f32 v26, -v13, v35, v17
	s_delay_alu instid0(VALU_DEP_3) | instskip(NEXT) | instid1(VALU_DEP_3)
	v_dual_mul_f32 v43, v33, v32 :: v_dual_fma_f32 v45, -v2, v23, v3
	v_dual_fma_f32 v46, -v10, v40, v11 :: v_dual_fma_f32 v12, -v12, v39, v16
	s_delay_alu instid0(VALU_DEP_3) | instskip(NEXT) | instid1(VALU_DEP_3)
	v_dual_fmac_f32 v35, v26, v18 :: v_dual_fma_f32 v16, -v19, v41, v20
	v_fmac_f32_e32 v23, v45, v28
	s_delay_alu instid0(VALU_DEP_3) | instskip(NEXT) | instid1(VALU_DEP_4)
	v_dual_fma_f32 v26, -v21, v43, v33 :: v_dual_fmac_f32 v40, v46, v29
	v_div_fmas_f32 v4, v12, v4, v39
	s_delay_alu instid0(VALU_DEP_3) | instskip(NEXT) | instid1(VALU_DEP_3)
	v_dual_fmac_f32 v41, v16, v30 :: v_dual_fma_f32 v2, -v2, v23, v3
	v_dual_fma_f32 v12, -v13, v35, v17 :: v_dual_fmac_f32 v43, v26, v32
	s_delay_alu instid0(VALU_DEP_4)
	v_fma_f32 v3, -v10, v40, v11
	s_mov_b32 vcc_lo, s1
	v_div_fixup_f32 v26, v4, v5, v22
	v_fma_f32 v4, -v19, v41, v20
	v_div_fmas_f32 v2, v2, v28, v23
	s_mov_b32 vcc_lo, s2
	v_fma_f32 v10, -v21, v43, v33
	v_div_fmas_f32 v11, v3, v29, v40
	s_mov_b32 vcc_lo, s0
	v_div_fixup_f32 v13, v38, v31, v37
	v_div_fmas_f32 v3, v12, v18, v35
	s_mov_b32 vcc_lo, s3
	v_div_fixup_f32 v7, v2, v31, v7
	;; [unrolled: 3-line block ×3, first 2 shown]
	v_div_fmas_f32 v4, v10, v32, v43
	v_div_fixup_f32 v10, v3, v15, v14
	v_cmp_gt_f32_e32 vcc_lo, v42, v53
	v_div_fixup_f32 v2, v12, v31, v8
	v_add_f32_e32 v11, v34, v13
	v_div_fixup_f32 v9, v4, v5, v9
	v_dual_add_f32 v10, v36, v10 :: v_dual_cndmask_b32 v3, v42, v53
	v_pk_add_f32 v[4:5], v[24:25], v[26:27]
	v_cmp_lt_f32_e32 vcc_lo, v44, v47
	s_delay_alu instid0(VALU_DEP_3) | instskip(NEXT) | instid1(VALU_DEP_3)
	v_add_f32_e32 v8, v9, v10
	v_pk_add_f32 v[14:15], v[4:5], v[6:7]
	s_delay_alu instid0(VALU_DEP_2)
	v_dual_cndmask_b32 v10, v44, v47, vcc_lo :: v_dual_add_f32 v12, v2, v8
	v_mov_b32_e32 v2, v31
.LBB18_5:
	s_or_b32 exec_lo, exec_lo, s5
	s_branch .LBB18_32
.LBB18_6:
                                        ; implicit-def: $vgpr3
                                        ; implicit-def: $vgpr14_vgpr15
                                        ; implicit-def: $vgpr10_vgpr11
                                        ; implicit-def: $vgpr12
	s_cbranch_execz .LBB18_32
; %bb.7:
	s_sub_co_i32 s0, s10, s28
	s_mov_b32 s1, exec_lo
                                        ; implicit-def: $vgpr3
	v_cmpx_gt_u32_e64 s0, v0
	s_cbranch_execz .LBB18_9
; %bb.8:
	flat_load_b32 v3, v0, s[26:27] scale_offset
.LBB18_9:
	s_wait_xcnt 0x0
	s_or_b32 exec_lo, exec_lo, s1
	s_wait_loadcnt_dscnt 0x0
	v_dual_mov_b32 v2, v3 :: v_dual_mov_b32 v5, 1.0
	v_mov_b64_e32 v[14:15], 0
	v_or_b32_e32 v4, 0x100, v0
	v_mov_b32_e32 v12, 0
	s_delay_alu instid0(VALU_DEP_4)
	v_mov_b64_e32 v[10:11], v[2:3]
	v_mov_b32_e32 v2, v5
	s_mov_b32 s1, exec_lo
	v_cmpx_gt_u32_e64 s0, v4
	s_cbranch_execz .LBB18_11
; %bb.10:
	flat_load_b32 v2, v0, s[26:27] offset:1024 scale_offset
	v_mov_b64_e32 v[12:13], 0x40c0000040800000
	v_mov_b32_e32 v6, 0
	s_delay_alu instid0(VALU_DEP_1) | instskip(SKIP_3) | instid1(VALU_DEP_2)
	v_mov_b32_e32 v11, v6
	s_wait_loadcnt_dscnt 0x0
	v_sub_f32_e32 v5, v2, v3
	v_cmp_lt_f32_e32 vcc_lo, v2, v3
	v_dual_mul_f32 v4, 0x40400000, v5 :: v_dual_mov_b32 v7, v5
	s_delay_alu instid0(VALU_DEP_1) | instskip(NEXT) | instid1(VALU_DEP_1)
	v_pk_mul_f32 v[8:9], v[4:5], v[6:7]
	v_mul_f32_e32 v4, v5, v9
	s_delay_alu instid0(VALU_DEP_1) | instskip(NEXT) | instid1(VALU_DEP_1)
	v_dual_mul_f32 v7, 0, v4 :: v_dual_mul_f32 v4, v5, v4
	v_fmamk_f32 v10, v7, 0x3e800000, v6
	s_delay_alu instid0(VALU_DEP_1) | instskip(SKIP_2) | instid1(VALU_DEP_2)
	v_pk_fma_f32 v[14:15], v[8:9], 0.5, v[10:11] op_sel_hi:[1,0,1]
	v_mov_b32_e32 v8, v5
	v_mov_b64_e32 v[10:11], 0x3e8000003f000000
	v_pk_mul_f32 v[8:9], v[8:9], v[12:13]
	v_cndmask_b32_e32 v13, v3, v2, vcc_lo
	v_cmp_lt_f32_e32 vcc_lo, v3, v2
	v_fmamk_f32 v4, v4, 0x3e000000, v6
	s_delay_alu instid0(VALU_DEP_4) | instskip(NEXT) | instid1(VALU_DEP_1)
	v_pk_mul_f32 v[8:9], v[8:9], 0 op_sel_hi:[1,0]
	v_pk_mul_f32 v[6:7], v[8:9], v[10:11]
	v_dual_cndmask_b32 v2, v3, v2 :: v_dual_fmac_f32 v3, 0.5, v5
	s_delay_alu instid0(VALU_DEP_1) | instskip(NEXT) | instid1(VALU_DEP_3)
	v_mov_b64_e32 v[10:11], v[2:3]
	v_dual_mov_b32 v3, v13 :: v_dual_add_f32 v4, v7, v4
	s_delay_alu instid0(VALU_DEP_1)
	v_dual_mov_b32 v2, 2.0 :: v_dual_add_f32 v12, v6, v4
.LBB18_11:
	s_or_b32 exec_lo, exec_lo, s1
	v_cmp_ne_u32_e32 vcc_lo, 31, v1
	v_and_b32_e32 v5, 0xe0, v0
	s_min_u32 s5, s0, 0x100
	v_dual_mov_b32 v19, v3 :: v_dual_mov_b32 v7, v2
	v_add_co_ci_u32_e64 v4, null, 0, v1, vcc_lo
	s_delay_alu instid0(VALU_DEP_3) | instskip(SKIP_1) | instid1(VALU_DEP_3)
	v_sub_nc_u32_e64 v13, s5, v5 clamp
	v_dual_mov_b32 v8, v14 :: v_dual_mov_b32 v9, v15
	v_lshlrev_b32_e32 v4, 2, v4
	ds_bpermute_b32 v21, v4, v2
	ds_bpermute_b32 v18, v4, v3
	;; [unrolled: 1-line block ×7, first 2 shown]
	v_add_nc_u32_e32 v4, 1, v1
	s_delay_alu instid0(VALU_DEP_1) | instskip(SKIP_2) | instid1(SALU_CYCLE_1)
	v_cmp_lt_u32_e32 vcc_lo, v4, v13
	v_mov_b64_e32 v[4:5], v[2:3]
	s_and_saveexec_b32 s0, vcc_lo
	s_xor_b32 s6, exec_lo, s0
	s_cbranch_execz .LBB18_13
; %bb.12:
	v_dual_mov_b32 v4, v2 :: v_dual_mov_b32 v5, v15
	s_wait_dscnt 0x2
	v_dual_mov_b32 v20, v17 :: v_dual_mul_f32 v8, v15, v21
	v_cmp_lt_f32_e32 vcc_lo, v10, v6
	v_dual_mul_f32 v30, v21, v21 :: v_dual_mov_b32 v31, v2
	s_wait_dscnt 0x1
	v_pk_add_f32 v[26:27], v[14:15], v[16:17]
	v_pk_fma_f32 v[4:5], v[4:5], v[20:21], v[8:9] op_sel_hi:[1,1,0] neg_lo:[0,0,1] neg_hi:[0,0,1]
	v_dual_mov_b32 v20, v2 :: v_dual_sub_f32 v8, v23, v11
	v_dual_cndmask_b32 v10, v10, v6, vcc_lo :: v_dual_mov_b32 v32, v21
	v_mov_b32_e32 v29, v2
	s_delay_alu instid0(VALU_DEP_3) | instskip(NEXT) | instid1(VALU_DEP_4)
	v_pk_mul_f32 v[24:25], v[2:3], v[20:21] op_sel_hi:[0,1]
	v_dual_sub_f32 v5, v2, v21 :: v_dual_mul_f32 v9, v8, v8
	v_mov_b32_e32 v28, 0x40400000
	s_delay_alu instid0(VALU_DEP_3) | instskip(NEXT) | instid1(VALU_DEP_3)
	v_dual_mov_b32 v6, v25 :: v_dual_mul_f32 v25, v8, v21
	v_mul_f32_e32 v19, v8, v9
	s_delay_alu instid0(VALU_DEP_2) | instskip(NEXT) | instid1(VALU_DEP_2)
	v_pk_fma_f32 v[6:7], v[2:3], v[20:21], v[6:7] op_sel_hi:[0,1,1] neg_lo:[0,0,1] neg_hi:[0,0,1]
	v_dual_mov_b32 v7, v21 :: v_dual_mul_f32 v20, v2, v19
	v_mul_f32_e32 v19, v8, v19
	s_delay_alu instid0(VALU_DEP_2) | instskip(NEXT) | instid1(VALU_DEP_2)
	v_pk_add_f32 v[6:7], v[30:31], v[6:7]
	v_dual_mul_f32 v20, v20, v21 :: v_dual_mul_f32 v34, v2, v19
	s_wait_dscnt 0x0
	v_add_f32_e32 v12, v12, v22
	v_mov_b64_e32 v[22:23], 0x40c0000040800000
	v_div_scale_f32 v19, null, v7, v7, v25
	v_dual_mov_b32 v35, v7 :: v_dual_mov_b32 v33, v7
	v_mul_f32_e32 v36, v5, v20
	s_delay_alu instid0(VALU_DEP_3) | instskip(SKIP_1) | instid1(VALU_DEP_3)
	v_rcp_f32_e32 v37, v19
	v_div_scale_f32 v39, vcc_lo, v25, v7, v25
	v_pk_mul_f32 v[32:33], v[34:35], v[32:33]
	v_dual_mov_b32 v34, v21 :: v_dual_mov_b32 v35, v30
	s_delay_alu instid0(TRANS32_DEP_1) | instskip(NEXT) | instid1(VALU_DEP_3)
	v_fma_f32 v27, -v19, v37, 1.0
	v_div_scale_f32 v38, null, v33, v33, v36
	v_mov_b32_e32 v5, v21
	v_pk_mul_f32 v[20:21], v[28:29], v[8:9]
	s_delay_alu instid0(VALU_DEP_4) | instskip(NEXT) | instid1(VALU_DEP_4)
	v_fmac_f32_e32 v37, v27, v37
	v_rcp_f32_e32 v40, v38
	v_pk_mul_f32 v[30:31], v[14:15], v[34:35]
	v_dual_mov_b32 v28, v2 :: v_dual_mov_b32 v29, v24
	v_pk_mul_f32 v[4:5], v[20:21], v[4:5]
	v_div_scale_f32 v21, s0, v36, v33, v36
	s_delay_alu instid0(TRANS32_DEP_1) | instskip(SKIP_1) | instid1(VALU_DEP_4)
	v_fma_f32 v14, -v38, v40, 1.0
	v_mul_f32_e32 v20, v39, v37
	v_div_scale_f32 v24, null, v7, v7, v5
	v_pk_mul_f32 v[8:9], v[8:9], v[22:23]
	s_delay_alu instid0(VALU_DEP_4) | instskip(NEXT) | instid1(VALU_DEP_4)
	v_fmac_f32_e32 v40, v14, v40
	v_fma_f32 v27, -v19, v20, v39
	s_delay_alu instid0(VALU_DEP_4) | instskip(SKIP_2) | instid1(VALU_DEP_3)
	v_rcp_f32_e32 v35, v24
	v_pk_fma_f32 v[22:23], v[2:3], v[16:17], v[30:31] neg_lo:[0,0,1] neg_hi:[0,0,1]
	v_div_scale_f32 v34, null, v7, v7, v4
	v_dual_fmac_f32 v20, v27, v37 :: v_dual_mul_f32 v41, v21, v40
	v_mov_b32_e32 v27, v15
	v_pk_fma_f32 v[14:15], v[28:29], v[16:17], v[30:31]
	s_delay_alu instid0(TRANS32_DEP_1) | instskip(NEXT) | instid1(VALU_DEP_4)
	v_fma_f32 v29, -v24, v35, 1.0
	v_dual_fma_f32 v19, -v19, v20, v39 :: v_dual_fma_f32 v28, -v38, v41, v21
	v_rcp_f32_e32 v14, v34
	s_delay_alu instid0(VALU_DEP_2) | instskip(NEXT) | instid1(VALU_DEP_2)
	v_dual_mov_b32 v23, v15 :: v_dual_fmac_f32 v35, v29, v35
	v_div_fmas_f32 v19, v19, v37, v20
	s_delay_alu instid0(VALU_DEP_3) | instskip(SKIP_1) | instid1(VALU_DEP_4)
	v_fmac_f32_e32 v41, v28, v40
	v_div_scale_f32 v28, s1, v5, v7, v5
	v_pk_mul_f32 v[8:9], v[8:9], v[22:23]
	s_delay_alu instid0(VALU_DEP_4) | instskip(NEXT) | instid1(VALU_DEP_4)
	v_div_fixup_f32 v19, v19, v7, v25
	v_fma_f32 v25, -v38, v41, v21
	v_pk_mul_f32 v[20:21], v[6:7], v[32:33]
	v_fma_f32 v29, -v34, v14, 1.0
	v_div_scale_f32 v22, null, v33, v33, v9
	v_div_scale_f32 v32, null, v7, v7, v8
	s_delay_alu instid0(VALU_DEP_4) | instskip(NEXT) | instid1(VALU_DEP_3)
	v_div_scale_f32 v6, null, v21, v21, v20
	v_rcp_f32_e32 v30, v22
	v_dual_mul_f32 v2, v28, v35 :: v_dual_fmac_f32 v14, v29, v14
	s_delay_alu instid0(VALU_DEP_2)
	v_rcp_f32_e32 v16, v6
	v_div_scale_f32 v15, s2, v4, v7, v4
	s_mov_b32 vcc_lo, s0
	v_rcp_f32_e32 v38, v32
	v_div_fmas_f32 v23, v25, v40, v41
	v_fma_f32 v37, -v22, v30, 1.0
	s_delay_alu instid0(TRANS32_DEP_2) | instskip(SKIP_2) | instid1(VALU_DEP_3)
	v_fma_f32 v29, -v6, v16, 1.0
	v_mul_f32_e32 v31, v15, v14
	s_mov_b32 vcc_lo, s1
	v_dual_add_f32 v11, v11, v19 :: v_dual_fmac_f32 v30, v37, v30
	s_delay_alu instid0(VALU_DEP_3) | instskip(SKIP_3) | instid1(VALU_DEP_3)
	v_fmac_f32_e32 v16, v29, v16
	v_div_scale_f32 v29, s0, v20, v21, v20
	v_fma_f32 v25, -v24, v2, v28
	v_div_scale_f32 v37, s3, v9, v33, v9
	v_mul_f32_e32 v39, v29, v16
	v_fma_f32 v40, -v32, v38, 1.0
	s_delay_alu instid0(VALU_DEP_4) | instskip(SKIP_1) | instid1(VALU_DEP_1)
	v_fmac_f32_e32 v2, v25, v35
	v_fma_f32 v25, -v34, v31, v15
	v_fmac_f32_e32 v31, v25, v14
	s_delay_alu instid0(VALU_DEP_3) | instskip(SKIP_3) | instid1(VALU_DEP_4)
	v_dual_fma_f32 v24, -v24, v2, v28 :: v_dual_fma_f32 v25, -v6, v39, v29
	v_mul_f32_e32 v28, v37, v30
	v_fmac_f32_e32 v38, v40, v38
	v_div_scale_f32 v40, s4, v8, v7, v8
	v_div_fmas_f32 v2, v24, v35, v2
	v_fma_f32 v15, -v34, v31, v15
	v_fmac_f32_e32 v39, v25, v16
	s_delay_alu instid0(VALU_DEP_4) | instskip(SKIP_1) | instid1(VALU_DEP_3)
	v_dual_fma_f32 v24, -v22, v28, v37 :: v_dual_mul_f32 v25, v40, v38
	s_mov_b32 vcc_lo, s2
	v_div_fmas_f32 v31, v15, v14, v31
	s_delay_alu instid0(VALU_DEP_2) | instskip(NEXT) | instid1(VALU_DEP_3)
	v_dual_fma_f32 v6, -v6, v39, v29 :: v_dual_fma_f32 v14, -v32, v25, v40
	v_fmac_f32_e32 v28, v24, v30
	s_mov_b32 vcc_lo, s0
	s_delay_alu instid0(VALU_DEP_2) | instskip(NEXT) | instid1(VALU_DEP_3)
	v_div_fmas_f32 v6, v6, v16, v39
	v_fmac_f32_e32 v25, v14, v38
	s_delay_alu instid0(VALU_DEP_3)
	v_fma_f32 v14, -v22, v28, v37
	s_mov_b32 vcc_lo, s3
	v_div_fixup_f32 v16, v23, v33, v36
	v_div_fixup_f32 v6, v6, v21, v20
	v_fma_f32 v15, -v32, v25, v40
	v_div_fmas_f32 v14, v14, v30, v28
	s_mov_b32 vcc_lo, s4
	s_delay_alu instid0(VALU_DEP_3) | instskip(NEXT) | instid1(VALU_DEP_3)
	v_add_f32_e32 v6, v12, v6
	v_div_fmas_f32 v12, v15, v38, v25
	s_delay_alu instid0(VALU_DEP_3)
	v_div_fixup_f32 v9, v14, v33, v9
	v_pk_add_f32 v[14:15], v[26:27], v[16:17]
	v_div_fixup_f32 v17, v2, v7, v5
	v_div_fixup_f32 v16, v31, v7, v4
	v_cmp_lt_f32_e32 vcc_lo, v18, v3
	v_div_fixup_f32 v2, v12, v7, v8
	v_add_f32_e32 v4, v9, v6
	s_delay_alu instid0(VALU_DEP_4) | instskip(NEXT) | instid1(VALU_DEP_2)
	v_pk_add_f32 v[8:9], v[14:15], v[16:17]
	v_dual_cndmask_b32 v5, v3, v18 :: v_dual_add_f32 v12, v2, v4
	v_mov_b32_e32 v4, v7
	s_delay_alu instid0(VALU_DEP_3) | instskip(NEXT) | instid1(VALU_DEP_3)
	v_mov_b64_e32 v[14:15], v[8:9]
	v_dual_mov_b32 v19, v5 :: v_dual_mov_b32 v3, v5
	v_mov_b32_e32 v2, v7
.LBB18_13:
	s_or_b32 exec_lo, exec_lo, s6
	v_cmp_gt_u32_e32 vcc_lo, 30, v1
	s_mov_b32 s4, exec_lo
	s_wait_dscnt 0x4
	v_cndmask_b32_e64 v6, 0, 2, vcc_lo
	s_delay_alu instid0(VALU_DEP_1)
	v_add_lshl_u32 v20, v6, v1, 2
	ds_bpermute_b32 v21, v20, v7
	ds_bpermute_b32 v18, v20, v19
	s_wait_dscnt 0x2
	ds_bpermute_b32 v22, v20, v10
	ds_bpermute_b32 v6, v20, v11
	;; [unrolled: 1-line block ×5, first 2 shown]
	v_add_nc_u32_e32 v20, 2, v1
	s_delay_alu instid0(VALU_DEP_1)
	v_cmpx_lt_u32_e64 v20, v13
	s_cbranch_execz .LBB18_15
; %bb.14:
	v_dual_mov_b32 v8, v4 :: v_dual_mov_b32 v9, v15
	s_wait_dscnt 0x2
	v_dual_mov_b32 v20, v17 :: v_dual_mul_f32 v24, v15, v21
	v_dual_mov_b32 v33, v4 :: v_dual_mov_b32 v34, v21
	s_wait_dscnt 0x1
	v_pk_add_f32 v[26:27], v[14:15], v[16:17]
	v_mov_b32_e32 v30, 0x40400000
	v_pk_fma_f32 v[8:9], v[8:9], v[20:21], v[24:25] op_sel_hi:[1,1,0] neg_lo:[0,0,1] neg_hi:[0,0,1]
	v_dual_mov_b32 v20, v4 :: v_dual_sub_f32 v24, v6, v11
	v_dual_mul_f32 v32, v21, v21 :: v_dual_sub_f32 v9, v2, v21
	v_mov_b32_e32 v38, v21
	s_delay_alu instid0(VALU_DEP_3) | instskip(SKIP_4) | instid1(VALU_DEP_3)
	v_pk_mul_f32 v[28:29], v[4:5], v[20:21] op_sel_hi:[0,1]
	v_mov_b32_e32 v31, v4
	v_mul_f32_e32 v25, v24, v24
	v_mov_b32_e32 v39, v32
	v_mov_b64_e32 v[36:37], 0x40c0000040800000
	v_dual_mov_b32 v6, v29 :: v_dual_mul_f32 v3, v24, v25
	v_pk_mul_f32 v[30:31], v[30:31], v[24:25]
	s_delay_alu instid0(VALU_DEP_2) | instskip(NEXT) | instid1(VALU_DEP_3)
	v_pk_fma_f32 v[6:7], v[4:5], v[20:21], v[6:7] op_sel_hi:[0,1,1] neg_lo:[0,0,1] neg_hi:[0,0,1]
	v_dual_mov_b32 v7, v21 :: v_dual_mul_f32 v19, v2, v3
	v_mul_f32_e32 v3, v24, v3
	s_delay_alu instid0(VALU_DEP_2) | instskip(NEXT) | instid1(VALU_DEP_3)
	v_pk_add_f32 v[6:7], v[32:33], v[6:7]
	v_dual_mul_f32 v33, v24, v21 :: v_dual_mul_f32 v19, v19, v21
	s_delay_alu instid0(VALU_DEP_3) | instskip(NEXT) | instid1(VALU_DEP_3)
	v_dual_mul_f32 v2, v2, v3 :: v_dual_mov_b32 v27, v15
	v_dual_mov_b32 v3, v7 :: v_dual_mov_b32 v35, v7
	s_delay_alu instid0(VALU_DEP_3) | instskip(NEXT) | instid1(VALU_DEP_4)
	v_div_scale_f32 v40, null, v7, v7, v33
	v_mul_f32_e32 v19, v9, v19
	v_mov_b32_e32 v9, v21
	s_delay_alu instid0(VALU_DEP_4) | instskip(NEXT) | instid1(VALU_DEP_4)
	v_pk_mul_f32 v[2:3], v[2:3], v[34:35]
	v_rcp_f32_e32 v32, v40
	v_mov_b32_e32 v21, v28
	v_pk_mul_f32 v[14:15], v[14:15], v[38:39]
	v_pk_mul_f32 v[8:9], v[30:31], v[8:9]
	v_div_scale_f32 v34, null, v3, v3, v19
	v_div_scale_f32 v31, s0, v19, v3, v19
	s_delay_alu instid0(TRANS32_DEP_1) | instskip(NEXT) | instid1(VALU_DEP_3)
	v_fma_f32 v28, -v40, v32, 1.0
	v_rcp_f32_e32 v35, v34
	v_pk_mul_f32 v[24:25], v[24:25], v[36:37]
	v_div_scale_f32 v30, null, v7, v7, v9
	s_delay_alu instid0(VALU_DEP_3) | instskip(SKIP_2) | instid1(TRANS32_DEP_1)
	v_fmac_f32_e32 v32, v28, v32
	v_pk_fma_f32 v[20:21], v[20:21], v[16:17], v[14:15]
	v_div_scale_f32 v20, vcc_lo, v33, v7, v33
	v_fma_f32 v28, -v34, v35, 1.0
	v_rcp_f32_e32 v37, v30
	v_pk_fma_f32 v[14:15], v[4:5], v[16:17], v[14:15] neg_lo:[0,0,1] neg_hi:[0,0,1]
	v_div_scale_f32 v38, null, v7, v7, v8
	s_delay_alu instid0(VALU_DEP_3) | instskip(SKIP_2) | instid1(TRANS32_DEP_1)
	v_fmac_f32_e32 v35, v28, v35
	v_mul_f32_e32 v36, v20, v32
	v_div_scale_f32 v41, s1, v9, v7, v9
	v_fma_f32 v42, -v30, v37, 1.0
	s_delay_alu instid0(VALU_DEP_3) | instskip(SKIP_1) | instid1(VALU_DEP_1)
	v_dual_mul_f32 v39, v31, v35 :: v_dual_fma_f32 v28, -v40, v36, v20
	v_rcp_f32_e32 v44, v38
	v_dual_mov_b32 v15, v21 :: v_dual_fma_f32 v43, -v34, v39, v31
	s_delay_alu instid0(VALU_DEP_2) | instskip(SKIP_2) | instid1(VALU_DEP_4)
	v_fmac_f32_e32 v36, v28, v32
	v_pk_mul_f32 v[28:29], v[6:7], v[2:3]
	v_fmac_f32_e32 v37, v42, v37
	v_pk_mul_f32 v[14:15], v[24:25], v[14:15]
	s_delay_alu instid0(VALU_DEP_4) | instskip(NEXT) | instid1(VALU_DEP_4)
	v_dual_fmac_f32 v39, v43, v35 :: v_dual_fma_f32 v2, -v40, v36, v20
	v_div_scale_f32 v6, null, v29, v29, v28
	s_delay_alu instid0(VALU_DEP_3) | instskip(NEXT) | instid1(VALU_DEP_3)
	v_div_scale_f32 v24, null, v3, v3, v15
	v_dual_fma_f32 v4, -v34, v39, v31 :: v_dual_mul_f32 v21, v41, v37
	s_delay_alu instid0(VALU_DEP_4) | instskip(NEXT) | instid1(VALU_DEP_3)
	v_div_fmas_f32 v2, v2, v32, v36
	v_rcp_f32_e32 v32, v24
	s_mov_b32 vcc_lo, s0
	v_rcp_f32_e32 v20, v6
	v_div_fmas_f32 v4, v4, v35, v39
	v_fma_f32 v16, -v38, v44, 1.0
	v_div_scale_f32 v35, null, v7, v7, v14
	s_delay_alu instid0(TRANS32_DEP_2) | instskip(SKIP_1) | instid1(VALU_DEP_4)
	v_fma_f32 v34, -v24, v32, 1.0
	v_div_scale_f32 v25, s0, v8, v7, v8
	v_fmac_f32_e32 v44, v16, v44
	v_fma_f32 v31, -v6, v20, 1.0
	v_div_fixup_f32 v16, v4, v3, v19
	v_fma_f32 v4, -v30, v21, v41
	v_fmac_f32_e32 v32, v34, v32
	v_rcp_f32_e32 v34, v35
	v_mul_f32_e32 v19, v25, v44
	v_fmac_f32_e32 v20, v31, v20
	v_div_scale_f32 v31, s2, v28, v29, v28
	v_fmac_f32_e32 v21, v4, v37
	s_delay_alu instid0(VALU_DEP_4) | instskip(SKIP_1) | instid1(VALU_DEP_3)
	v_fma_f32 v4, -v38, v19, v25
	s_mov_b32 vcc_lo, s1
	v_mul_f32_e32 v36, v31, v20
	v_div_scale_f32 v39, s3, v15, v3, v15
	v_fma_f32 v30, -v30, v21, v41
	v_fma_f32 v41, -v35, v34, 1.0
	v_pk_add_f32 v[16:17], v[26:27], v[16:17]
	v_div_fixup_f32 v2, v2, v7, v33
	s_delay_alu instid0(VALU_DEP_4) | instskip(NEXT) | instid1(VALU_DEP_4)
	v_div_fmas_f32 v21, v30, v37, v21
	v_fmac_f32_e32 v34, v41, v34
	v_div_scale_f32 v30, s1, v14, v7, v14
	v_fmac_f32_e32 v19, v4, v44
	v_fma_f32 v4, -v6, v36, v31
	v_mul_f32_e32 v40, v39, v32
	s_mov_b32 vcc_lo, s0
	v_div_fixup_f32 v9, v21, v7, v9
	v_dual_fma_f32 v25, -v38, v19, v25 :: v_dual_add_f32 v11, v11, v2
	s_delay_alu instid0(VALU_DEP_1) | instskip(SKIP_3) | instid1(VALU_DEP_3)
	v_div_fmas_f32 v19, v25, v44, v19
	v_dual_mul_f32 v25, v30, v34 :: v_dual_fmac_f32 v36, v4, v20
	v_fma_f32 v4, -v24, v40, v39
	s_mov_b32 vcc_lo, s2
	v_div_fixup_f32 v8, v19, v7, v8
	s_delay_alu instid0(VALU_DEP_3) | instskip(NEXT) | instid1(VALU_DEP_3)
	v_fma_f32 v6, -v6, v36, v31
	v_fmac_f32_e32 v40, v4, v32
	s_delay_alu instid0(VALU_DEP_3) | instskip(NEXT) | instid1(VALU_DEP_3)
	v_pk_add_f32 v[8:9], v[16:17], v[8:9]
	v_div_fmas_f32 v4, v6, v20, v36
	v_fma_f32 v6, -v35, v25, v30
	s_mov_b32 vcc_lo, s3
	s_delay_alu instid0(VALU_DEP_2) | instskip(NEXT) | instid1(VALU_DEP_2)
	v_div_fixup_f32 v4, v4, v29, v28
	v_dual_fmac_f32 v25, v6, v34 :: v_dual_fma_f32 v20, -v24, v40, v39
	s_wait_dscnt 0x0
	s_delay_alu instid0(VALU_DEP_1) | instskip(NEXT) | instid1(VALU_DEP_2)
	v_dual_add_f32 v12, v12, v23 :: v_dual_fma_f32 v19, -v35, v25, v30
	v_div_fmas_f32 v6, v20, v32, v40
	s_mov_b32 vcc_lo, s1
	s_delay_alu instid0(VALU_DEP_1) | instskip(NEXT) | instid1(VALU_DEP_3)
	v_div_fixup_f32 v3, v6, v3, v15
	v_div_fmas_f32 v6, v19, v34, v25
	v_cmp_lt_f32_e32 vcc_lo, v18, v5
	v_dual_add_f32 v4, v12, v4 :: v_dual_cndmask_b32 v19, v5, v18
	v_cmp_lt_f32_e32 vcc_lo, v10, v22
	s_delay_alu instid0(VALU_DEP_4) | instskip(NEXT) | instid1(VALU_DEP_3)
	v_div_fixup_f32 v5, v6, v7, v14
	v_add_f32_e32 v3, v3, v4
	v_mov_b64_e32 v[14:15], v[8:9]
	v_dual_mov_b32 v2, v7 :: v_dual_cndmask_b32 v10, v10, v22, vcc_lo
	s_delay_alu instid0(VALU_DEP_3) | instskip(SKIP_1) | instid1(VALU_DEP_2)
	v_dual_mov_b32 v18, v7 :: v_dual_add_f32 v12, v5, v3
	v_mov_b32_e32 v3, v19
	v_mov_b64_e32 v[4:5], v[18:19]
.LBB18_15:
	s_or_b32 exec_lo, exec_lo, s4
	v_cmp_gt_u32_e32 vcc_lo, 28, v1
	s_mov_b32 s4, exec_lo
	s_wait_dscnt 0x3
	v_cndmask_b32_e64 v6, 0, 4, vcc_lo
	s_delay_alu instid0(VALU_DEP_1)
	v_add_lshl_u32 v20, v6, v1, 2
	ds_bpermute_b32 v21, v20, v7
	ds_bpermute_b32 v18, v20, v19
	;; [unrolled: 1-line block ×4, first 2 shown]
	s_wait_dscnt 0x6
	ds_bpermute_b32 v17, v20, v9
	s_wait_dscnt 0x6
	ds_bpermute_b32 v16, v20, v8
	;; [unrolled: 2-line block ×3, first 2 shown]
	v_add_nc_u32_e32 v20, 4, v1
	s_delay_alu instid0(VALU_DEP_1)
	v_cmpx_lt_u32_e64 v20, v13
	s_cbranch_execz .LBB18_17
; %bb.16:
	v_dual_mov_b32 v8, v4 :: v_dual_mov_b32 v9, v15
	s_wait_dscnt 0x2
	v_dual_mov_b32 v20, v17 :: v_dual_mul_f32 v24, v15, v21
	v_dual_mov_b32 v33, v4 :: v_dual_mov_b32 v34, v21
	s_wait_dscnt 0x1
	v_pk_add_f32 v[26:27], v[14:15], v[16:17]
	v_mov_b32_e32 v30, 0x40400000
	v_pk_fma_f32 v[8:9], v[8:9], v[20:21], v[24:25] op_sel_hi:[1,1,0] neg_lo:[0,0,1] neg_hi:[0,0,1]
	v_dual_mov_b32 v20, v4 :: v_dual_sub_f32 v24, v6, v11
	v_dual_mul_f32 v32, v21, v21 :: v_dual_sub_f32 v9, v2, v21
	v_mov_b32_e32 v38, v21
	s_delay_alu instid0(VALU_DEP_3) | instskip(SKIP_4) | instid1(VALU_DEP_3)
	v_pk_mul_f32 v[28:29], v[4:5], v[20:21] op_sel_hi:[0,1]
	v_mov_b32_e32 v31, v4
	v_mul_f32_e32 v25, v24, v24
	v_mov_b32_e32 v39, v32
	v_mov_b64_e32 v[36:37], 0x40c0000040800000
	v_dual_mov_b32 v6, v29 :: v_dual_mul_f32 v3, v24, v25
	v_pk_mul_f32 v[30:31], v[30:31], v[24:25]
	s_delay_alu instid0(VALU_DEP_2) | instskip(NEXT) | instid1(VALU_DEP_3)
	v_pk_fma_f32 v[6:7], v[4:5], v[20:21], v[6:7] op_sel_hi:[0,1,1] neg_lo:[0,0,1] neg_hi:[0,0,1]
	v_dual_mov_b32 v7, v21 :: v_dual_mul_f32 v19, v2, v3
	v_mul_f32_e32 v3, v24, v3
	s_delay_alu instid0(VALU_DEP_2) | instskip(NEXT) | instid1(VALU_DEP_3)
	v_pk_add_f32 v[6:7], v[32:33], v[6:7]
	v_dual_mul_f32 v33, v24, v21 :: v_dual_mul_f32 v19, v19, v21
	s_delay_alu instid0(VALU_DEP_3) | instskip(NEXT) | instid1(VALU_DEP_3)
	v_dual_mul_f32 v2, v2, v3 :: v_dual_mov_b32 v27, v15
	v_dual_mov_b32 v3, v7 :: v_dual_mov_b32 v35, v7
	s_delay_alu instid0(VALU_DEP_3) | instskip(NEXT) | instid1(VALU_DEP_4)
	v_div_scale_f32 v40, null, v7, v7, v33
	v_mul_f32_e32 v19, v9, v19
	v_mov_b32_e32 v9, v21
	s_delay_alu instid0(VALU_DEP_4) | instskip(NEXT) | instid1(VALU_DEP_4)
	v_pk_mul_f32 v[2:3], v[2:3], v[34:35]
	v_rcp_f32_e32 v32, v40
	v_mov_b32_e32 v21, v28
	v_pk_mul_f32 v[14:15], v[14:15], v[38:39]
	v_pk_mul_f32 v[8:9], v[30:31], v[8:9]
	v_div_scale_f32 v34, null, v3, v3, v19
	v_div_scale_f32 v31, s0, v19, v3, v19
	s_delay_alu instid0(TRANS32_DEP_1) | instskip(NEXT) | instid1(VALU_DEP_3)
	v_fma_f32 v28, -v40, v32, 1.0
	v_rcp_f32_e32 v35, v34
	v_pk_mul_f32 v[24:25], v[24:25], v[36:37]
	v_div_scale_f32 v30, null, v7, v7, v9
	s_delay_alu instid0(VALU_DEP_3) | instskip(SKIP_2) | instid1(TRANS32_DEP_1)
	v_fmac_f32_e32 v32, v28, v32
	v_pk_fma_f32 v[20:21], v[20:21], v[16:17], v[14:15]
	v_div_scale_f32 v20, vcc_lo, v33, v7, v33
	v_fma_f32 v28, -v34, v35, 1.0
	v_rcp_f32_e32 v37, v30
	v_pk_fma_f32 v[14:15], v[4:5], v[16:17], v[14:15] neg_lo:[0,0,1] neg_hi:[0,0,1]
	v_div_scale_f32 v38, null, v7, v7, v8
	s_delay_alu instid0(VALU_DEP_3) | instskip(SKIP_2) | instid1(TRANS32_DEP_1)
	v_fmac_f32_e32 v35, v28, v35
	v_mul_f32_e32 v36, v20, v32
	v_div_scale_f32 v41, s1, v9, v7, v9
	v_fma_f32 v42, -v30, v37, 1.0
	s_delay_alu instid0(VALU_DEP_3) | instskip(SKIP_1) | instid1(VALU_DEP_1)
	v_dual_mul_f32 v39, v31, v35 :: v_dual_fma_f32 v28, -v40, v36, v20
	v_rcp_f32_e32 v44, v38
	v_dual_mov_b32 v15, v21 :: v_dual_fma_f32 v43, -v34, v39, v31
	s_delay_alu instid0(VALU_DEP_2) | instskip(SKIP_2) | instid1(VALU_DEP_4)
	v_fmac_f32_e32 v36, v28, v32
	v_pk_mul_f32 v[28:29], v[6:7], v[2:3]
	v_fmac_f32_e32 v37, v42, v37
	v_pk_mul_f32 v[14:15], v[24:25], v[14:15]
	s_delay_alu instid0(VALU_DEP_4) | instskip(NEXT) | instid1(VALU_DEP_4)
	v_dual_fmac_f32 v39, v43, v35 :: v_dual_fma_f32 v2, -v40, v36, v20
	v_div_scale_f32 v6, null, v29, v29, v28
	s_delay_alu instid0(VALU_DEP_3) | instskip(NEXT) | instid1(VALU_DEP_3)
	v_div_scale_f32 v24, null, v3, v3, v15
	v_dual_fma_f32 v4, -v34, v39, v31 :: v_dual_mul_f32 v21, v41, v37
	s_delay_alu instid0(VALU_DEP_4) | instskip(NEXT) | instid1(VALU_DEP_3)
	v_div_fmas_f32 v2, v2, v32, v36
	v_rcp_f32_e32 v32, v24
	s_mov_b32 vcc_lo, s0
	v_rcp_f32_e32 v20, v6
	v_div_fmas_f32 v4, v4, v35, v39
	v_fma_f32 v16, -v38, v44, 1.0
	v_div_scale_f32 v35, null, v7, v7, v14
	s_delay_alu instid0(TRANS32_DEP_2) | instskip(SKIP_1) | instid1(VALU_DEP_4)
	v_fma_f32 v34, -v24, v32, 1.0
	v_div_scale_f32 v25, s0, v8, v7, v8
	v_fmac_f32_e32 v44, v16, v44
	v_fma_f32 v31, -v6, v20, 1.0
	v_div_fixup_f32 v16, v4, v3, v19
	v_fma_f32 v4, -v30, v21, v41
	v_fmac_f32_e32 v32, v34, v32
	v_rcp_f32_e32 v34, v35
	v_mul_f32_e32 v19, v25, v44
	v_fmac_f32_e32 v20, v31, v20
	v_div_scale_f32 v31, s2, v28, v29, v28
	v_fmac_f32_e32 v21, v4, v37
	s_delay_alu instid0(VALU_DEP_4) | instskip(SKIP_1) | instid1(VALU_DEP_3)
	v_fma_f32 v4, -v38, v19, v25
	s_mov_b32 vcc_lo, s1
	v_mul_f32_e32 v36, v31, v20
	v_div_scale_f32 v39, s3, v15, v3, v15
	v_fma_f32 v30, -v30, v21, v41
	v_fma_f32 v41, -v35, v34, 1.0
	v_pk_add_f32 v[16:17], v[26:27], v[16:17]
	v_div_fixup_f32 v2, v2, v7, v33
	s_delay_alu instid0(VALU_DEP_4) | instskip(NEXT) | instid1(VALU_DEP_4)
	v_div_fmas_f32 v21, v30, v37, v21
	v_fmac_f32_e32 v34, v41, v34
	v_div_scale_f32 v30, s1, v14, v7, v14
	v_fmac_f32_e32 v19, v4, v44
	v_fma_f32 v4, -v6, v36, v31
	v_mul_f32_e32 v40, v39, v32
	s_mov_b32 vcc_lo, s0
	v_div_fixup_f32 v9, v21, v7, v9
	v_dual_fma_f32 v25, -v38, v19, v25 :: v_dual_add_f32 v11, v11, v2
	s_delay_alu instid0(VALU_DEP_1) | instskip(SKIP_3) | instid1(VALU_DEP_3)
	v_div_fmas_f32 v19, v25, v44, v19
	v_dual_mul_f32 v25, v30, v34 :: v_dual_fmac_f32 v36, v4, v20
	v_fma_f32 v4, -v24, v40, v39
	s_mov_b32 vcc_lo, s2
	v_div_fixup_f32 v8, v19, v7, v8
	s_delay_alu instid0(VALU_DEP_3) | instskip(NEXT) | instid1(VALU_DEP_3)
	v_fma_f32 v6, -v6, v36, v31
	v_fmac_f32_e32 v40, v4, v32
	s_delay_alu instid0(VALU_DEP_3) | instskip(NEXT) | instid1(VALU_DEP_3)
	v_pk_add_f32 v[8:9], v[16:17], v[8:9]
	v_div_fmas_f32 v4, v6, v20, v36
	v_fma_f32 v6, -v35, v25, v30
	s_mov_b32 vcc_lo, s3
	s_delay_alu instid0(VALU_DEP_2) | instskip(NEXT) | instid1(VALU_DEP_2)
	v_div_fixup_f32 v4, v4, v29, v28
	v_dual_fmac_f32 v25, v6, v34 :: v_dual_fma_f32 v20, -v24, v40, v39
	s_wait_dscnt 0x0
	s_delay_alu instid0(VALU_DEP_1) | instskip(NEXT) | instid1(VALU_DEP_2)
	v_dual_add_f32 v12, v12, v23 :: v_dual_fma_f32 v19, -v35, v25, v30
	v_div_fmas_f32 v6, v20, v32, v40
	s_mov_b32 vcc_lo, s1
	s_delay_alu instid0(VALU_DEP_1) | instskip(NEXT) | instid1(VALU_DEP_3)
	v_div_fixup_f32 v3, v6, v3, v15
	v_div_fmas_f32 v6, v19, v34, v25
	v_cmp_lt_f32_e32 vcc_lo, v18, v5
	v_dual_add_f32 v4, v12, v4 :: v_dual_cndmask_b32 v19, v5, v18
	v_cmp_lt_f32_e32 vcc_lo, v10, v22
	s_delay_alu instid0(VALU_DEP_4) | instskip(NEXT) | instid1(VALU_DEP_3)
	v_div_fixup_f32 v5, v6, v7, v14
	v_add_f32_e32 v3, v3, v4
	v_mov_b64_e32 v[14:15], v[8:9]
	v_dual_mov_b32 v2, v7 :: v_dual_cndmask_b32 v10, v10, v22, vcc_lo
	s_delay_alu instid0(VALU_DEP_3) | instskip(SKIP_1) | instid1(VALU_DEP_2)
	v_dual_mov_b32 v18, v7 :: v_dual_add_f32 v12, v5, v3
	v_mov_b32_e32 v3, v19
	v_mov_b64_e32 v[4:5], v[18:19]
.LBB18_17:
	s_or_b32 exec_lo, exec_lo, s4
	v_cmp_gt_u32_e32 vcc_lo, 24, v1
	s_mov_b32 s4, exec_lo
	s_wait_dscnt 0x3
	v_cndmask_b32_e64 v6, 0, 8, vcc_lo
	s_delay_alu instid0(VALU_DEP_1)
	v_add_lshl_u32 v20, v6, v1, 2
	ds_bpermute_b32 v21, v20, v7
	ds_bpermute_b32 v18, v20, v19
	;; [unrolled: 1-line block ×4, first 2 shown]
	s_wait_dscnt 0x6
	ds_bpermute_b32 v17, v20, v9
	s_wait_dscnt 0x6
	ds_bpermute_b32 v16, v20, v8
	;; [unrolled: 2-line block ×3, first 2 shown]
	v_add_nc_u32_e32 v20, 8, v1
	s_delay_alu instid0(VALU_DEP_1)
	v_cmpx_lt_u32_e64 v20, v13
	s_cbranch_execz .LBB18_19
; %bb.18:
	v_dual_mov_b32 v8, v4 :: v_dual_mov_b32 v9, v15
	s_wait_dscnt 0x2
	v_dual_mov_b32 v20, v17 :: v_dual_mul_f32 v24, v15, v21
	v_dual_mov_b32 v33, v4 :: v_dual_mov_b32 v34, v21
	s_wait_dscnt 0x1
	v_pk_add_f32 v[26:27], v[14:15], v[16:17]
	v_mov_b32_e32 v30, 0x40400000
	v_pk_fma_f32 v[8:9], v[8:9], v[20:21], v[24:25] op_sel_hi:[1,1,0] neg_lo:[0,0,1] neg_hi:[0,0,1]
	v_dual_mov_b32 v20, v4 :: v_dual_sub_f32 v24, v6, v11
	v_dual_mul_f32 v32, v21, v21 :: v_dual_sub_f32 v9, v2, v21
	v_mov_b32_e32 v38, v21
	s_delay_alu instid0(VALU_DEP_3) | instskip(SKIP_4) | instid1(VALU_DEP_3)
	v_pk_mul_f32 v[28:29], v[4:5], v[20:21] op_sel_hi:[0,1]
	v_mov_b32_e32 v31, v4
	v_mul_f32_e32 v25, v24, v24
	v_mov_b32_e32 v39, v32
	v_mov_b64_e32 v[36:37], 0x40c0000040800000
	v_dual_mov_b32 v6, v29 :: v_dual_mul_f32 v3, v24, v25
	v_pk_mul_f32 v[30:31], v[30:31], v[24:25]
	s_delay_alu instid0(VALU_DEP_2) | instskip(NEXT) | instid1(VALU_DEP_3)
	v_pk_fma_f32 v[6:7], v[4:5], v[20:21], v[6:7] op_sel_hi:[0,1,1] neg_lo:[0,0,1] neg_hi:[0,0,1]
	v_dual_mov_b32 v7, v21 :: v_dual_mul_f32 v19, v2, v3
	v_mul_f32_e32 v3, v24, v3
	s_delay_alu instid0(VALU_DEP_2) | instskip(NEXT) | instid1(VALU_DEP_3)
	v_pk_add_f32 v[6:7], v[32:33], v[6:7]
	v_dual_mul_f32 v33, v24, v21 :: v_dual_mul_f32 v19, v19, v21
	s_delay_alu instid0(VALU_DEP_3) | instskip(NEXT) | instid1(VALU_DEP_3)
	v_dual_mul_f32 v2, v2, v3 :: v_dual_mov_b32 v27, v15
	v_dual_mov_b32 v3, v7 :: v_dual_mov_b32 v35, v7
	s_delay_alu instid0(VALU_DEP_3) | instskip(NEXT) | instid1(VALU_DEP_4)
	v_div_scale_f32 v40, null, v7, v7, v33
	v_mul_f32_e32 v19, v9, v19
	v_mov_b32_e32 v9, v21
	s_delay_alu instid0(VALU_DEP_4) | instskip(NEXT) | instid1(VALU_DEP_4)
	v_pk_mul_f32 v[2:3], v[2:3], v[34:35]
	v_rcp_f32_e32 v32, v40
	v_mov_b32_e32 v21, v28
	v_pk_mul_f32 v[14:15], v[14:15], v[38:39]
	v_pk_mul_f32 v[8:9], v[30:31], v[8:9]
	v_div_scale_f32 v34, null, v3, v3, v19
	v_div_scale_f32 v31, s0, v19, v3, v19
	s_delay_alu instid0(TRANS32_DEP_1) | instskip(NEXT) | instid1(VALU_DEP_3)
	v_fma_f32 v28, -v40, v32, 1.0
	v_rcp_f32_e32 v35, v34
	v_pk_mul_f32 v[24:25], v[24:25], v[36:37]
	v_div_scale_f32 v30, null, v7, v7, v9
	s_delay_alu instid0(VALU_DEP_3) | instskip(SKIP_2) | instid1(TRANS32_DEP_1)
	v_fmac_f32_e32 v32, v28, v32
	v_pk_fma_f32 v[20:21], v[20:21], v[16:17], v[14:15]
	v_div_scale_f32 v20, vcc_lo, v33, v7, v33
	v_fma_f32 v28, -v34, v35, 1.0
	v_rcp_f32_e32 v37, v30
	v_pk_fma_f32 v[14:15], v[4:5], v[16:17], v[14:15] neg_lo:[0,0,1] neg_hi:[0,0,1]
	v_div_scale_f32 v38, null, v7, v7, v8
	s_delay_alu instid0(VALU_DEP_3) | instskip(SKIP_2) | instid1(TRANS32_DEP_1)
	v_fmac_f32_e32 v35, v28, v35
	v_mul_f32_e32 v36, v20, v32
	v_div_scale_f32 v41, s1, v9, v7, v9
	v_fma_f32 v42, -v30, v37, 1.0
	s_delay_alu instid0(VALU_DEP_3) | instskip(SKIP_1) | instid1(VALU_DEP_1)
	v_dual_mul_f32 v39, v31, v35 :: v_dual_fma_f32 v28, -v40, v36, v20
	v_rcp_f32_e32 v44, v38
	v_dual_mov_b32 v15, v21 :: v_dual_fma_f32 v43, -v34, v39, v31
	s_delay_alu instid0(VALU_DEP_2) | instskip(SKIP_2) | instid1(VALU_DEP_4)
	v_fmac_f32_e32 v36, v28, v32
	v_pk_mul_f32 v[28:29], v[6:7], v[2:3]
	v_fmac_f32_e32 v37, v42, v37
	v_pk_mul_f32 v[14:15], v[24:25], v[14:15]
	s_delay_alu instid0(VALU_DEP_4) | instskip(NEXT) | instid1(VALU_DEP_4)
	v_dual_fmac_f32 v39, v43, v35 :: v_dual_fma_f32 v2, -v40, v36, v20
	v_div_scale_f32 v6, null, v29, v29, v28
	s_delay_alu instid0(VALU_DEP_3) | instskip(NEXT) | instid1(VALU_DEP_3)
	v_div_scale_f32 v24, null, v3, v3, v15
	v_dual_fma_f32 v4, -v34, v39, v31 :: v_dual_mul_f32 v21, v41, v37
	s_delay_alu instid0(VALU_DEP_4) | instskip(NEXT) | instid1(VALU_DEP_3)
	v_div_fmas_f32 v2, v2, v32, v36
	v_rcp_f32_e32 v32, v24
	s_mov_b32 vcc_lo, s0
	v_rcp_f32_e32 v20, v6
	v_div_fmas_f32 v4, v4, v35, v39
	v_fma_f32 v16, -v38, v44, 1.0
	v_div_scale_f32 v35, null, v7, v7, v14
	s_delay_alu instid0(TRANS32_DEP_2) | instskip(SKIP_1) | instid1(VALU_DEP_4)
	v_fma_f32 v34, -v24, v32, 1.0
	v_div_scale_f32 v25, s0, v8, v7, v8
	v_fmac_f32_e32 v44, v16, v44
	v_fma_f32 v31, -v6, v20, 1.0
	v_div_fixup_f32 v16, v4, v3, v19
	v_fma_f32 v4, -v30, v21, v41
	v_fmac_f32_e32 v32, v34, v32
	v_rcp_f32_e32 v34, v35
	v_mul_f32_e32 v19, v25, v44
	v_fmac_f32_e32 v20, v31, v20
	v_div_scale_f32 v31, s2, v28, v29, v28
	v_fmac_f32_e32 v21, v4, v37
	s_delay_alu instid0(VALU_DEP_4) | instskip(SKIP_1) | instid1(VALU_DEP_3)
	v_fma_f32 v4, -v38, v19, v25
	s_mov_b32 vcc_lo, s1
	v_mul_f32_e32 v36, v31, v20
	v_div_scale_f32 v39, s3, v15, v3, v15
	v_fma_f32 v30, -v30, v21, v41
	v_fma_f32 v41, -v35, v34, 1.0
	v_pk_add_f32 v[16:17], v[26:27], v[16:17]
	v_div_fixup_f32 v2, v2, v7, v33
	s_delay_alu instid0(VALU_DEP_4) | instskip(NEXT) | instid1(VALU_DEP_4)
	v_div_fmas_f32 v21, v30, v37, v21
	v_fmac_f32_e32 v34, v41, v34
	v_div_scale_f32 v30, s1, v14, v7, v14
	v_fmac_f32_e32 v19, v4, v44
	v_fma_f32 v4, -v6, v36, v31
	v_mul_f32_e32 v40, v39, v32
	s_mov_b32 vcc_lo, s0
	v_div_fixup_f32 v9, v21, v7, v9
	v_dual_fma_f32 v25, -v38, v19, v25 :: v_dual_add_f32 v11, v11, v2
	s_delay_alu instid0(VALU_DEP_1) | instskip(SKIP_3) | instid1(VALU_DEP_3)
	v_div_fmas_f32 v19, v25, v44, v19
	v_dual_mul_f32 v25, v30, v34 :: v_dual_fmac_f32 v36, v4, v20
	v_fma_f32 v4, -v24, v40, v39
	s_mov_b32 vcc_lo, s2
	v_div_fixup_f32 v8, v19, v7, v8
	s_delay_alu instid0(VALU_DEP_3) | instskip(NEXT) | instid1(VALU_DEP_3)
	v_fma_f32 v6, -v6, v36, v31
	v_fmac_f32_e32 v40, v4, v32
	s_delay_alu instid0(VALU_DEP_3) | instskip(NEXT) | instid1(VALU_DEP_3)
	v_pk_add_f32 v[8:9], v[16:17], v[8:9]
	v_div_fmas_f32 v4, v6, v20, v36
	v_fma_f32 v6, -v35, v25, v30
	s_mov_b32 vcc_lo, s3
	s_delay_alu instid0(VALU_DEP_2) | instskip(NEXT) | instid1(VALU_DEP_2)
	v_div_fixup_f32 v4, v4, v29, v28
	v_dual_fmac_f32 v25, v6, v34 :: v_dual_fma_f32 v20, -v24, v40, v39
	s_wait_dscnt 0x0
	s_delay_alu instid0(VALU_DEP_1) | instskip(NEXT) | instid1(VALU_DEP_2)
	v_dual_add_f32 v12, v12, v23 :: v_dual_fma_f32 v19, -v35, v25, v30
	v_div_fmas_f32 v6, v20, v32, v40
	s_mov_b32 vcc_lo, s1
	s_delay_alu instid0(VALU_DEP_1) | instskip(NEXT) | instid1(VALU_DEP_3)
	v_div_fixup_f32 v3, v6, v3, v15
	v_div_fmas_f32 v6, v19, v34, v25
	v_cmp_lt_f32_e32 vcc_lo, v18, v5
	v_dual_add_f32 v4, v12, v4 :: v_dual_cndmask_b32 v19, v5, v18
	v_cmp_lt_f32_e32 vcc_lo, v10, v22
	s_delay_alu instid0(VALU_DEP_4) | instskip(NEXT) | instid1(VALU_DEP_3)
	v_div_fixup_f32 v5, v6, v7, v14
	v_add_f32_e32 v3, v3, v4
	v_mov_b64_e32 v[14:15], v[8:9]
	v_dual_mov_b32 v2, v7 :: v_dual_cndmask_b32 v10, v10, v22, vcc_lo
	s_delay_alu instid0(VALU_DEP_3) | instskip(SKIP_1) | instid1(VALU_DEP_2)
	v_dual_mov_b32 v18, v7 :: v_dual_add_f32 v12, v5, v3
	v_mov_b32_e32 v3, v19
	v_mov_b64_e32 v[4:5], v[18:19]
.LBB18_19:
	s_or_b32 exec_lo, exec_lo, s4
	v_lshlrev_b32_e32 v20, 2, v1
	s_mov_b32 s4, exec_lo
	s_wait_dscnt 0x1
	s_delay_alu instid0(VALU_DEP_1)
	v_or_b32_e32 v16, 64, v20
	ds_bpermute_b32 v17, v16, v7
	ds_bpermute_b32 v19, v16, v19
	;; [unrolled: 1-line block ×7, first 2 shown]
	v_add_nc_u32_e32 v9, 16, v1
	s_delay_alu instid0(VALU_DEP_1)
	v_cmpx_lt_u32_e64 v9, v13
	s_cbranch_execz .LBB18_21
; %bb.20:
	s_wait_dscnt 0x7
	v_dual_mov_b32 v22, v4 :: v_dual_mov_b32 v23, v15
	s_wait_dscnt 0x2
	v_mov_b32_e32 v16, v7
	v_dual_mul_f32 v24, v15, v17 :: v_dual_mov_b32 v35, v4
	v_dual_mov_b32 v36, v17 :: v_dual_sub_f32 v9, v2, v17
	v_mov_b32_e32 v30, 0x40400000
	s_delay_alu instid0(VALU_DEP_3) | instskip(SKIP_4) | instid1(VALU_DEP_3)
	v_pk_fma_f32 v[22:23], v[22:23], v[16:17], v[24:25] op_sel_hi:[1,1,0] neg_lo:[0,0,1] neg_hi:[0,0,1]
	v_dual_mov_b32 v16, v4 :: v_dual_sub_f32 v24, v21, v11
	v_dual_mul_f32 v34, v17, v17 :: v_dual_mov_b32 v40, v17
	s_wait_dscnt 0x1
	v_pk_add_f32 v[26:27], v[14:15], v[6:7]
	v_pk_mul_f32 v[28:29], v[4:5], v[16:17] op_sel_hi:[0,1]
	v_mov_b32_e32 v31, v4
	v_mul_f32_e32 v25, v24, v24
	v_mov_b64_e32 v[38:39], 0x40c0000040800000
	s_delay_alu instid0(VALU_DEP_4) | instskip(NEXT) | instid1(VALU_DEP_3)
	v_dual_mov_b32 v27, v15 :: v_dual_mov_b32 v32, v29
	v_dual_mov_b32 v41, v34 :: v_dual_mul_f32 v13, v24, v25
	v_pk_mul_f32 v[30:31], v[30:31], v[24:25]
	s_wait_dscnt 0x0
	v_add_f32_e32 v12, v12, v8
	v_pk_fma_f32 v[32:33], v[4:5], v[16:17], v[32:33] op_sel_hi:[0,1,1] neg_lo:[0,0,1] neg_hi:[0,0,1]
	v_dual_mov_b32 v33, v17 :: v_dual_mul_f32 v21, v2, v13
	v_mul_f32_e32 v13, v24, v13
	s_delay_alu instid0(VALU_DEP_2) | instskip(SKIP_1) | instid1(VALU_DEP_3)
	v_pk_add_f32 v[32:33], v[34:35], v[32:33]
	v_mul_f32_e32 v35, v24, v17
	v_mul_f32_e32 v42, v2, v13
	;; [unrolled: 1-line block ×3, first 2 shown]
	v_pk_mul_f32 v[14:15], v[14:15], v[40:41]
	v_mov_b32_e32 v43, v33
	v_div_scale_f32 v2, null, v33, v33, v35
	v_mov_b32_e32 v37, v33
	v_mul_f32_e32 v9, v9, v21
	v_pk_mul_f32 v[24:25], v[24:25], v[38:39]
	s_delay_alu instid0(VALU_DEP_4) | instskip(SKIP_4) | instid1(VALU_DEP_3)
	v_rcp_f32_e32 v13, v2
	v_mov_b32_e32 v23, v17
	v_pk_mul_f32 v[36:37], v[42:43], v[36:37]
	v_mov_b32_e32 v17, v28
	v_pk_fma_f32 v[4:5], v[4:5], v[6:7], v[14:15] neg_lo:[0,0,1] neg_hi:[0,0,1]
	v_div_scale_f32 v21, null, v37, v37, v9
	s_delay_alu instid0(TRANS32_DEP_1) | instskip(NEXT) | instid1(VALU_DEP_4)
	v_fma_f32 v28, -v2, v13, 1.0
	v_pk_fma_f32 v[16:17], v[16:17], v[6:7], v[14:15]
	v_div_scale_f32 v16, vcc_lo, v35, v33, v35
	s_delay_alu instid0(VALU_DEP_4) | instskip(NEXT) | instid1(VALU_DEP_3)
	v_rcp_f32_e32 v34, v21
	v_fmac_f32_e32 v13, v28, v13
	v_pk_mul_f32 v[22:23], v[30:31], v[22:23]
	v_div_scale_f32 v31, s0, v9, v37, v9
	v_mov_b32_e32 v5, v17
	s_delay_alu instid0(VALU_DEP_3) | instskip(NEXT) | instid1(TRANS32_DEP_1)
	v_div_scale_f32 v30, null, v33, v33, v23
	v_fma_f32 v28, -v21, v34, 1.0
	v_div_scale_f32 v42, s1, v23, v33, v23
	s_delay_alu instid0(VALU_DEP_3) | instskip(SKIP_1) | instid1(VALU_DEP_3)
	v_rcp_f32_e32 v39, v30
	v_div_scale_f32 v40, null, v33, v33, v22
	v_fmac_f32_e32 v34, v28, v34
	v_mul_f32_e32 v38, v16, v13
	v_pk_mul_f32 v[4:5], v[24:25], v[4:5]
	s_delay_alu instid0(VALU_DEP_4) | instskip(NEXT) | instid1(TRANS32_DEP_2)
	v_rcp_f32_e32 v45, v40
	v_fma_f32 v43, -v30, v39, 1.0
	v_mul_f32_e32 v41, v31, v34
	v_fma_f32 v28, -v2, v38, v16
	v_div_scale_f32 v17, null, v37, v37, v5
	s_delay_alu instid0(VALU_DEP_4) | instskip(NEXT) | instid1(VALU_DEP_4)
	v_fmac_f32_e32 v39, v43, v39
	v_fma_f32 v44, -v21, v41, v31
	s_delay_alu instid0(VALU_DEP_4)
	v_fmac_f32_e32 v38, v28, v13
	v_pk_mul_f32 v[28:29], v[32:33], v[36:37]
	v_fma_f32 v14, -v40, v45, 1.0
	v_rcp_f32_e32 v24, v17
	v_fmac_f32_e32 v41, v44, v34
	v_fma_f32 v2, -v2, v38, v16
	v_mul_f32_e32 v16, v42, v39
	v_div_scale_f32 v32, null, v33, v33, v4
	s_delay_alu instid0(VALU_DEP_4) | instskip(NEXT) | instid1(VALU_DEP_4)
	v_fma_f32 v6, -v21, v41, v31
	v_div_fmas_f32 v2, v2, v13, v38
	v_div_scale_f32 v13, null, v29, v29, v28
	s_mov_b32 vcc_lo, s0
	v_fma_f32 v31, -v17, v24, 1.0
	v_div_fmas_f32 v6, v6, v34, v41
	v_rcp_f32_e32 v15, v13
	v_div_scale_f32 v36, s3, v5, v37, v5
	s_delay_alu instid0(VALU_DEP_3) | instskip(NEXT) | instid1(VALU_DEP_3)
	v_fmac_f32_e32 v24, v31, v24
	v_div_fixup_f32 v6, v6, v37, v9
	v_rcp_f32_e32 v31, v32
	s_mov_b32 vcc_lo, s1
	s_delay_alu instid0(TRANS32_DEP_2) | instskip(SKIP_2) | instid1(VALU_DEP_3)
	v_fma_f32 v21, -v13, v15, 1.0
	v_fmac_f32_e32 v45, v14, v45
	v_div_scale_f32 v14, s0, v22, v33, v22
	v_dual_mul_f32 v38, v36, v24 :: v_dual_fmac_f32 v15, v21, v15
	v_div_scale_f32 v21, s2, v28, v29, v28
	v_fma_f32 v9, -v30, v16, v42
	v_fma_f32 v41, -v32, v31, 1.0
	v_pk_add_f32 v[6:7], v[26:27], v[6:7]
	s_delay_alu instid0(VALU_DEP_4) | instskip(NEXT) | instid1(VALU_DEP_1)
	v_dual_mul_f32 v34, v21, v15 :: v_dual_mul_f32 v25, v14, v45
	v_dual_fmac_f32 v16, v9, v39 :: v_dual_fma_f32 v9, -v40, v25, v14
	s_delay_alu instid0(VALU_DEP_1) | instskip(NEXT) | instid1(VALU_DEP_3)
	v_dual_fma_f32 v30, -v30, v16, v42 :: v_dual_fmac_f32 v25, v9, v45
	v_fma_f32 v9, -v13, v34, v21
	s_delay_alu instid0(VALU_DEP_2) | instskip(SKIP_1) | instid1(VALU_DEP_4)
	v_div_fmas_f32 v16, v30, v39, v16
	v_div_scale_f32 v30, s1, v4, v33, v4
	v_fma_f32 v14, -v40, v25, v14
	s_delay_alu instid0(VALU_DEP_4) | instskip(SKIP_3) | instid1(VALU_DEP_3)
	v_fmac_f32_e32 v34, v9, v15
	v_fma_f32 v9, -v17, v38, v36
	v_fmac_f32_e32 v31, v41, v31
	s_mov_b32 vcc_lo, s0
	v_fma_f32 v13, -v13, v34, v21
	v_div_fmas_f32 v14, v14, v45, v25
	s_mov_b32 vcc_lo, s2
	v_dual_mul_f32 v21, v30, v31 :: v_dual_fmac_f32 v38, v9, v24
	s_delay_alu instid0(VALU_DEP_3) | instskip(SKIP_1) | instid1(VALU_DEP_2)
	v_div_fmas_f32 v9, v13, v15, v34
	s_mov_b32 vcc_lo, s3
	v_fma_f32 v13, -v32, v21, v30
	s_delay_alu instid0(VALU_DEP_2) | instskip(SKIP_2) | instid1(VALU_DEP_4)
	v_div_fixup_f32 v15, v9, v29, v28
	v_div_fixup_f32 v9, v16, v33, v23
	;; [unrolled: 1-line block ×3, first 2 shown]
	v_fmac_f32_e32 v21, v13, v31
	s_delay_alu instid0(VALU_DEP_4) | instskip(NEXT) | instid1(VALU_DEP_3)
	v_dual_mov_b32 v2, v33 :: v_dual_add_f32 v12, v12, v15
	v_dual_fma_f32 v8, -v17, v38, v36 :: v_dual_add_f32 v11, v11, v16
	s_delay_alu instid0(VALU_DEP_1) | instskip(SKIP_3) | instid1(VALU_DEP_3)
	v_div_fmas_f32 v13, v8, v24, v38
	v_div_fixup_f32 v8, v14, v33, v22
	v_fma_f32 v14, -v32, v21, v30
	s_mov_b32 vcc_lo, s1
	v_div_fixup_f32 v5, v13, v37, v5
	s_delay_alu instid0(VALU_DEP_2) | instskip(SKIP_2) | instid1(VALU_DEP_4)
	v_div_fmas_f32 v13, v14, v31, v21
	v_cmp_gt_f32_e32 vcc_lo, v3, v19
	v_pk_add_f32 v[14:15], v[6:7], v[8:9]
	v_add_f32_e32 v5, v5, v12
	s_delay_alu instid0(VALU_DEP_4) | instskip(SKIP_2) | instid1(VALU_DEP_3)
	v_div_fixup_f32 v4, v13, v33, v4
	v_cndmask_b32_e32 v3, v3, v19, vcc_lo
	v_cmp_lt_f32_e32 vcc_lo, v10, v18
	v_add_f32_e32 v12, v4, v5
	s_delay_alu instid0(VALU_DEP_3)
	v_mov_b64_e32 v[4:5], v[2:3]
	v_cndmask_b32_e32 v10, v10, v18, vcc_lo
.LBB18_21:
	s_or_b32 exec_lo, exec_lo, s4
	s_delay_alu instid0(SALU_CYCLE_1)
	s_mov_b32 s0, exec_lo
	v_cmpx_eq_u32_e32 0, v1
	s_cbranch_execz .LBB18_23
; %bb.22:
	s_wait_dscnt 0x1
	v_lshrrev_b32_e32 v6, 5, v0
	s_delay_alu instid0(VALU_DEP_1)
	v_mul_u32_u24_e32 v6, 28, v6
	ds_store_2addr_b32 v6, v4, v5 offset1:1
	ds_store_2addr_b32 v6, v10, v11 offset0:2 offset1:3
	ds_store_2addr_b32 v6, v15, v14 offset0:4 offset1:5
	ds_store_b32 v6, v12 offset:24
.LBB18_23:
	s_or_b32 exec_lo, exec_lo, s0
	s_delay_alu instid0(SALU_CYCLE_1)
	s_mov_b32 s6, exec_lo
	s_wait_dscnt 0x0
	s_barrier_signal -1
	s_barrier_wait -1
	v_cmpx_gt_u32_e32 8, v0
	s_cbranch_execz .LBB18_31
; %bb.24:
	v_mul_u32_u24_e32 v2, 28, v1
	v_and_b32_e32 v13, 7, v1
	s_add_co_i32 s5, s5, 31
	ds_load_2addr_b32 v[4:5], v2 offset1:1
	ds_load_2addr_b32 v[10:11], v2 offset0:2 offset1:3
	ds_load_2addr_b32 v[6:7], v2 offset0:4 offset1:5
	ds_load_b32 v12, v2 offset:24
	v_cmp_ne_u32_e32 vcc_lo, 7, v13
	s_lshr_b32 s5, s5, 5
	v_add_co_ci_u32_e64 v2, null, 0, v1, vcc_lo
	s_delay_alu instid0(VALU_DEP_1)
	v_lshlrev_b32_e32 v2, 2, v2
	s_wait_dscnt 0x3
	ds_bpermute_b32 v17, v2, v4
	ds_bpermute_b32 v19, v2, v5
	s_wait_dscnt 0x4
	ds_bpermute_b32 v18, v2, v10
	ds_bpermute_b32 v22, v2, v11
	;; [unrolled: 3-line block ×3, first 2 shown]
	s_wait_dscnt 0x6
	ds_bpermute_b32 v21, v2, v12
	v_dual_add_nc_u32 v2, 1, v13 :: v_dual_mov_b32 v14, v7
	v_dual_mov_b32 v15, v6 :: v_dual_mov_b32 v3, v5
	s_delay_alu instid0(VALU_DEP_2)
	v_cmp_gt_u32_e32 vcc_lo, s5, v2
	v_mov_b32_e32 v2, v4
	s_and_saveexec_b32 s7, vcc_lo
	s_cbranch_execz .LBB18_26
; %bb.25:
	v_dual_mov_b32 v2, v4 :: v_dual_mov_b32 v3, v6
	s_wait_dscnt 0x2
	v_dual_mov_b32 v16, v9 :: v_dual_mul_f32 v24, v6, v17
	v_dual_mov_b32 v29, v4 :: v_dual_mul_f32 v32, v17, v17
	v_sub_f32_e32 v22, v22, v11
	v_mov_b32_e32 v28, 0x40400000
	s_delay_alu instid0(VALU_DEP_4)
	v_pk_fma_f32 v[2:3], v[2:3], v[16:17], v[24:25] op_sel_hi:[1,1,0] neg_lo:[0,0,1] neg_hi:[0,0,1]
	v_dual_mov_b32 v16, v4 :: v_dual_sub_f32 v3, v4, v17
	s_wait_dscnt 0x1
	v_pk_add_f32 v[26:27], v[14:15], v[8:9]
	v_mov_b64_e32 v[38:39], 0x40c0000040800000
	s_wait_dscnt 0x0
	v_add_f32_e32 v12, v12, v21
	v_pk_mul_f32 v[24:25], v[4:5], v[16:17] op_sel_hi:[0,1]
	v_mul_f32_e32 v23, v22, v22
	s_delay_alu instid0(VALU_DEP_2) | instskip(NEXT) | instid1(VALU_DEP_2)
	v_dual_mov_b32 v27, v6 :: v_dual_mov_b32 v30, v25
	v_dual_mov_b32 v33, v4 :: v_dual_mul_f32 v7, v22, v23
	v_mov_b32_e32 v34, v17
	v_pk_mul_f32 v[28:29], v[28:29], v[22:23]
	s_delay_alu instid0(VALU_DEP_4) | instskip(NEXT) | instid1(VALU_DEP_4)
	v_pk_fma_f32 v[30:31], v[4:5], v[16:17], v[30:31] op_sel_hi:[0,1,1] neg_lo:[0,0,1] neg_hi:[0,0,1]
	v_dual_mov_b32 v31, v17 :: v_dual_mul_f32 v16, v4, v7
	v_dual_mul_f32 v21, v22, v7 :: v_dual_mov_b32 v7, v9
	s_delay_alu instid0(VALU_DEP_2) | instskip(NEXT) | instid1(VALU_DEP_3)
	v_pk_add_f32 v[30:31], v[32:33], v[30:31]
	v_dual_mul_f32 v33, v22, v17 :: v_dual_mul_f32 v16, v16, v17
	s_delay_alu instid0(VALU_DEP_3) | instskip(SKIP_1) | instid1(VALU_DEP_4)
	v_mul_f32_e32 v36, v4, v21
	v_pk_mul_f32 v[22:23], v[22:23], v[38:39]
	v_dual_mov_b32 v37, v31 :: v_dual_mov_b32 v35, v31
	s_delay_alu instid0(VALU_DEP_4) | instskip(SKIP_2) | instid1(VALU_DEP_4)
	v_div_scale_f32 v21, null, v31, v31, v33
	v_dual_mul_f32 v40, v3, v16 :: v_dual_mov_b32 v16, v4
	v_mov_b32_e32 v3, v17
	v_pk_mul_f32 v[34:35], v[36:37], v[34:35]
	s_delay_alu instid0(VALU_DEP_4) | instskip(SKIP_1) | instid1(VALU_DEP_3)
	v_rcp_f32_e32 v41, v21
	v_dual_mov_b32 v36, v17 :: v_dual_mov_b32 v37, v32
	v_pk_mul_f32 v[2:3], v[28:29], v[2:3]
	s_delay_alu instid0(VALU_DEP_3) | instskip(SKIP_1) | instid1(TRANS32_DEP_1)
	v_div_scale_f32 v42, null, v35, v35, v40
	v_div_scale_f32 v25, vcc_lo, v33, v31, v33
	v_fma_f32 v17, -v21, v41, 1.0
	s_delay_alu instid0(VALU_DEP_3) | instskip(SKIP_2) | instid1(VALU_DEP_3)
	v_rcp_f32_e32 v28, v42
	v_div_scale_f32 v29, null, v31, v31, v3
	v_div_scale_f32 v43, s0, v40, v35, v40
	v_fmac_f32_e32 v41, v17, v41
	s_delay_alu instid0(VALU_DEP_3) | instskip(NEXT) | instid1(TRANS32_DEP_2)
	v_rcp_f32_e32 v45, v29
	v_fma_f32 v17, -v42, v28, 1.0
	v_pk_mul_f32 v[14:15], v[14:15], v[36:37]
	v_div_scale_f32 v32, null, v31, v31, v2
	v_div_scale_f32 v46, s1, v3, v31, v3
	s_delay_alu instid0(VALU_DEP_4) | instskip(SKIP_3) | instid1(VALU_DEP_2)
	v_fmac_f32_e32 v28, v17, v28
	v_dual_mul_f32 v44, v25, v41 :: v_dual_mov_b32 v17, v24
	v_fma_f32 v24, -v29, v45, 1.0
	v_rcp_f32_e32 v37, v32
	v_fma_f32 v6, -v21, v44, v25
	s_delay_alu instid0(VALU_DEP_2) | instskip(SKIP_2) | instid1(VALU_DEP_4)
	v_dual_mul_f32 v36, v43, v28 :: v_dual_fmac_f32 v45, v24, v45
	v_pk_fma_f32 v[16:17], v[16:17], v[8:9], v[14:15]
	v_pk_fma_f32 v[8:9], v[4:5], v[8:9], v[14:15] neg_lo:[0,0,1] neg_hi:[0,0,1]
	v_fmac_f32_e32 v44, v6, v41
	s_delay_alu instid0(VALU_DEP_4) | instskip(SKIP_2) | instid1(VALU_DEP_4)
	v_fma_f32 v6, -v42, v36, v43
	v_fma_f32 v47, -v32, v37, 1.0
	v_dual_mov_b32 v9, v17 :: v_dual_mul_f32 v15, v46, v45
	v_fma_f32 v21, -v21, v44, v25
	s_delay_alu instid0(VALU_DEP_4)
	v_fmac_f32_e32 v36, v6, v28
	v_pk_mul_f32 v[24:25], v[30:31], v[34:35]
	v_fmac_f32_e32 v37, v47, v37
	v_pk_mul_f32 v[8:9], v[22:23], v[8:9]
	v_div_fmas_f32 v16, v21, v41, v44
	v_fma_f32 v6, -v42, v36, v43
	s_mov_b32 vcc_lo, s0
	v_div_scale_f32 v14, null, v25, v25, v24
	v_div_scale_f32 v21, s0, v2, v31, v2
	s_delay_alu instid0(VALU_DEP_3) | instskip(SKIP_2) | instid1(VALU_DEP_3)
	v_div_fmas_f32 v4, v6, v28, v36
	v_div_scale_f32 v17, null, v35, v35, v9
	v_div_scale_f32 v28, null, v31, v31, v8
	v_div_fixup_f32 v6, v4, v35, v40
	v_rcp_f32_e32 v4, v14
	s_mov_b32 vcc_lo, s1
	s_delay_alu instid0(VALU_DEP_2) | instskip(NEXT) | instid1(VALU_DEP_1)
	v_rcp_f32_e32 v34, v28
	v_pk_add_f32 v[6:7], v[26:27], v[6:7]
	v_rcp_f32_e32 v26, v17
	s_delay_alu instid0(TRANS32_DEP_3) | instskip(SKIP_1) | instid1(TRANS32_DEP_2)
	v_fma_f32 v23, -v14, v4, 1.0
	v_fma_f32 v22, -v29, v15, v46
	v_fma_f32 v38, -v28, v34, 1.0
	s_delay_alu instid0(VALU_DEP_3) | instskip(SKIP_3) | instid1(VALU_DEP_3)
	v_fmac_f32_e32 v4, v23, v4
	v_div_scale_f32 v23, s2, v24, v25, v24
	v_mul_f32_e32 v27, v21, v37
	v_fma_f32 v30, -v17, v26, 1.0
	v_dual_mul_f32 v36, v23, v4 :: v_dual_fmac_f32 v15, v22, v45
	s_delay_alu instid0(VALU_DEP_3) | instskip(NEXT) | instid1(VALU_DEP_1)
	v_fma_f32 v22, -v32, v27, v21
	v_dual_fma_f32 v29, -v29, v15, v46 :: v_dual_fmac_f32 v27, v22, v37
	s_delay_alu instid0(VALU_DEP_3) | instskip(SKIP_2) | instid1(VALU_DEP_3)
	v_fma_f32 v22, -v14, v36, v23
	v_fmac_f32_e32 v26, v30, v26
	v_div_scale_f32 v30, s3, v9, v35, v9
	v_dual_fma_f32 v21, -v32, v27, v21 :: v_dual_fmac_f32 v36, v22, v4
	v_div_fmas_f32 v15, v29, v45, v15
	s_mov_b32 vcc_lo, s0
	s_delay_alu instid0(VALU_DEP_2) | instskip(NEXT) | instid1(VALU_DEP_3)
	v_div_fmas_f32 v21, v21, v37, v27
	v_fma_f32 v14, -v14, v36, v23
	s_mov_b32 vcc_lo, s2
	v_div_fixup_f32 v15, v15, v31, v3
	s_delay_alu instid0(VALU_DEP_2) | instskip(SKIP_2) | instid1(VALU_DEP_2)
	v_div_fmas_f32 v4, v14, v4, v36
	v_div_fixup_f32 v14, v21, v31, v2
	s_mov_b32 vcc_lo, s3
	v_div_fixup_f32 v3, v4, v25, v24
	v_fmac_f32_e32 v34, v38, v34
	v_div_scale_f32 v38, s4, v8, v31, v8
	v_pk_add_f32 v[14:15], v[6:7], v[14:15]
	s_delay_alu instid0(VALU_DEP_2) | instskip(SKIP_1) | instid1(VALU_DEP_3)
	v_dual_add_f32 v12, v12, v3 :: v_dual_mul_f32 v29, v38, v34
	v_mul_f32_e32 v39, v30, v26
	v_dual_mov_b32 v7, v14 :: v_dual_mov_b32 v6, v15
	s_delay_alu instid0(VALU_DEP_3) | instskip(NEXT) | instid1(VALU_DEP_3)
	v_fma_f32 v23, -v28, v29, v38
	v_fma_f32 v22, -v17, v39, v30
	s_delay_alu instid0(VALU_DEP_1) | instskip(NEXT) | instid1(VALU_DEP_1)
	v_fmac_f32_e32 v39, v22, v26
	v_dual_fma_f32 v2, -v17, v39, v30 :: v_dual_fmac_f32 v29, v23, v34
	s_delay_alu instid0(VALU_DEP_1) | instskip(NEXT) | instid1(VALU_DEP_2)
	v_fma_f32 v4, -v28, v29, v38
	v_div_fmas_f32 v2, v2, v26, v39
	s_mov_b32 vcc_lo, s4
	s_delay_alu instid0(VALU_DEP_2) | instskip(NEXT) | instid1(VALU_DEP_2)
	v_div_fmas_f32 v4, v4, v34, v29
	v_div_fixup_f32 v2, v2, v35, v9
	v_cmp_lt_f32_e32 vcc_lo, v19, v5
	s_delay_alu instid0(VALU_DEP_3) | instskip(SKIP_4) | instid1(VALU_DEP_2)
	v_div_fixup_f32 v4, v4, v31, v8
	v_cndmask_b32_e32 v3, v5, v19, vcc_lo
	v_div_fixup_f32 v5, v16, v31, v33
	v_add_f32_e32 v2, v2, v12
	v_cmp_lt_f32_e32 vcc_lo, v10, v18
	v_dual_add_f32 v11, v11, v5 :: v_dual_add_f32 v12, v4, v2
	v_dual_cndmask_b32 v10, v10, v18 :: v_dual_mov_b32 v5, v3
	v_dual_mov_b32 v4, v31 :: v_dual_mov_b32 v2, v31
.LBB18_26:
	s_or_b32 exec_lo, exec_lo, s7
	v_cmp_gt_u32_e32 vcc_lo, 6, v13
	s_wait_dscnt 0x1
	v_cndmask_b32_e64 v8, 0, 2, vcc_lo
	s_delay_alu instid0(VALU_DEP_1)
	v_add_lshl_u32 v8, v8, v1, 2
	ds_bpermute_b32 v19, v8, v4
	ds_bpermute_b32 v1, v8, v5
	s_wait_dscnt 0x2
	ds_bpermute_b32 v21, v8, v10
	ds_bpermute_b32 v23, v8, v11
	;; [unrolled: 1-line block ×5, first 2 shown]
	v_add_nc_u32_e32 v8, 2, v13
	s_delay_alu instid0(VALU_DEP_1)
	v_cmp_gt_u32_e32 vcc_lo, s5, v8
	v_mov_b64_e32 v[8:9], v[2:3]
	s_and_saveexec_b32 s7, vcc_lo
	s_cbranch_execz .LBB18_28
; %bb.27:
	v_dual_mov_b32 v4, v2 :: v_dual_mov_b32 v5, v15
	s_wait_dscnt 0x2
	v_dual_mov_b32 v18, v17 :: v_dual_mul_f32 v6, v15, v19
	v_dual_mov_b32 v27, v2 :: v_dual_mul_f32 v30, v19, v19
	v_dual_mov_b32 v31, v2 :: v_dual_mov_b32 v26, 0x40400000
	s_delay_alu instid0(VALU_DEP_3)
	v_pk_fma_f32 v[4:5], v[4:5], v[18:19], v[6:7] op_sel_hi:[1,1,0] neg_lo:[0,0,1] neg_hi:[0,0,1]
	v_dual_mov_b32 v18, v2 :: v_dual_sub_f32 v6, v23, v11
	v_sub_f32_e32 v5, v2, v19
	s_wait_dscnt 0x1
	v_pk_add_f32 v[24:25], v[14:15], v[16:17]
	v_mov_b64_e32 v[34:35], 0x40c0000040800000
	v_pk_mul_f32 v[8:9], v[2:3], v[18:19] op_sel_hi:[0,1]
	v_mul_f32_e32 v7, v6, v6
	s_wait_dscnt 0x0
	v_dual_add_f32 v12, v12, v22 :: v_dual_mov_b32 v25, v15
	s_delay_alu instid0(VALU_DEP_2) | instskip(SKIP_2) | instid1(VALU_DEP_3)
	v_dual_mov_b32 v28, v9 :: v_dual_mul_f32 v9, v6, v7
	v_mov_b32_e32 v22, v19
	v_pk_mul_f32 v[26:27], v[26:27], v[6:7]
	v_pk_fma_f32 v[28:29], v[2:3], v[18:19], v[28:29] op_sel_hi:[0,1,1] neg_lo:[0,0,1] neg_hi:[0,0,1]
	s_delay_alu instid0(VALU_DEP_4) | instskip(SKIP_1) | instid1(VALU_DEP_2)
	v_dual_mov_b32 v29, v19 :: v_dual_mul_f32 v18, v2, v9
	v_dual_mul_f32 v23, v6, v9 :: v_dual_mov_b32 v9, v17
	v_pk_add_f32 v[28:29], v[30:31], v[28:29]
	v_mul_f32_e32 v31, v6, v19
	s_delay_alu instid0(VALU_DEP_4) | instskip(NEXT) | instid1(VALU_DEP_4)
	v_mul_f32_e32 v18, v18, v19
	v_mul_f32_e32 v32, v2, v23
	v_pk_mul_f32 v[6:7], v[6:7], v[34:35]
	v_dual_mov_b32 v33, v29 :: v_dual_mov_b32 v23, v29
	v_div_scale_f32 v36, null, v29, v29, v31
	v_dual_mul_f32 v37, v5, v18 :: v_dual_mov_b32 v5, v19
	v_mov_b32_e32 v18, v2
	s_delay_alu instid0(VALU_DEP_4) | instskip(NEXT) | instid1(VALU_DEP_4)
	v_pk_mul_f32 v[22:23], v[32:33], v[22:23]
	v_rcp_f32_e32 v38, v36
	v_dual_mov_b32 v32, v19 :: v_dual_mov_b32 v33, v30
	v_pk_mul_f32 v[4:5], v[26:27], v[4:5]
	s_delay_alu instid0(VALU_DEP_3) | instskip(SKIP_1) | instid1(VALU_DEP_3)
	v_div_scale_f32 v39, null, v23, v23, v37
	v_div_scale_f32 v26, vcc_lo, v31, v29, v31
	v_div_scale_f32 v40, null, v29, v29, v5
	s_delay_alu instid0(VALU_DEP_3) | instskip(SKIP_2) | instid1(VALU_DEP_3)
	v_rcp_f32_e32 v30, v39
	v_fma_f32 v19, -v36, v38, 1.0
	v_div_scale_f32 v41, null, v29, v29, v4
	v_rcp_f32_e32 v44, v40
	v_div_scale_f32 v42, s0, v37, v23, v37
	s_delay_alu instid0(VALU_DEP_3) | instskip(NEXT) | instid1(TRANS32_DEP_2)
	v_fmac_f32_e32 v38, v19, v38
	v_fma_f32 v19, -v39, v30, 1.0
	v_pk_mul_f32 v[14:15], v[14:15], v[32:33]
	v_rcp_f32_e32 v33, v41
	v_div_scale_f32 v45, s1, v5, v29, v5
	s_delay_alu instid0(VALU_DEP_3) | instskip(SKIP_2) | instid1(TRANS32_DEP_1)
	v_dual_fmac_f32 v30, v19, v30 :: v_dual_mov_b32 v19, v8
	v_mul_f32_e32 v43, v26, v38
	v_fma_f32 v8, -v40, v44, 1.0
	v_fma_f32 v46, -v41, v33, 1.0
	s_delay_alu instid0(VALU_DEP_4) | instskip(SKIP_1) | instid1(VALU_DEP_4)
	v_pk_fma_f32 v[18:19], v[18:19], v[16:17], v[14:15]
	v_pk_fma_f32 v[14:15], v[2:3], v[16:17], v[14:15] neg_lo:[0,0,1] neg_hi:[0,0,1]
	v_fmac_f32_e32 v44, v8, v44
	v_dual_fma_f32 v27, -v36, v43, v26 :: v_dual_mul_f32 v32, v42, v30
	s_delay_alu instid0(VALU_DEP_4) | instskip(NEXT) | instid1(VALU_DEP_2)
	v_dual_mov_b32 v15, v19 :: v_dual_fmac_f32 v33, v46, v33
	v_fmac_f32_e32 v43, v27, v38
	s_delay_alu instid0(VALU_DEP_3) | instskip(NEXT) | instid1(VALU_DEP_3)
	v_fma_f32 v27, -v39, v32, v42
	v_pk_mul_f32 v[6:7], v[6:7], v[14:15]
	s_delay_alu instid0(VALU_DEP_3) | instskip(NEXT) | instid1(VALU_DEP_3)
	v_dual_mul_f32 v14, v45, v44 :: v_dual_fma_f32 v8, -v36, v43, v26
	v_fmac_f32_e32 v32, v27, v30
	v_pk_mul_f32 v[26:27], v[28:29], v[22:23]
	s_delay_alu instid0(VALU_DEP_4) | instskip(NEXT) | instid1(VALU_DEP_4)
	v_div_scale_f32 v15, null, v23, v23, v7
	v_div_fmas_f32 v18, v8, v38, v43
	s_delay_alu instid0(VALU_DEP_4) | instskip(SKIP_3) | instid1(VALU_DEP_3)
	v_fma_f32 v8, -v39, v32, v42
	s_mov_b32 vcc_lo, s0
	v_div_scale_f32 v16, null, v27, v27, v26
	v_div_scale_f32 v17, s0, v4, v29, v4
	v_div_fmas_f32 v2, v8, v30, v32
	v_div_scale_f32 v28, null, v29, v29, v6
	v_fma_f32 v19, -v40, v14, v45
	s_mov_b32 vcc_lo, s1
	s_delay_alu instid0(VALU_DEP_3) | instskip(SKIP_2) | instid1(VALU_DEP_1)
	v_div_fixup_f32 v8, v2, v23, v37
	v_rcp_f32_e32 v2, v16
	v_rcp_f32_e32 v32, v28
	v_pk_add_f32 v[8:9], v[24:25], v[8:9]
	v_mul_f32_e32 v25, v17, v33
	v_rcp_f32_e32 v24, v15
	s_delay_alu instid0(TRANS32_DEP_3) | instskip(NEXT) | instid1(TRANS32_DEP_2)
	v_fma_f32 v22, -v16, v2, 1.0
	v_fma_f32 v35, -v28, v32, 1.0
	s_delay_alu instid0(VALU_DEP_2) | instskip(SKIP_2) | instid1(TRANS32_DEP_1)
	v_fmac_f32_e32 v2, v22, v2
	v_div_scale_f32 v22, s2, v26, v27, v26
	v_dual_fmac_f32 v14, v19, v44 :: v_dual_fma_f32 v19, -v41, v25, v17
	v_fma_f32 v30, -v15, v24, 1.0
	s_delay_alu instid0(VALU_DEP_3) | instskip(NEXT) | instid1(VALU_DEP_3)
	v_mul_f32_e32 v34, v22, v2
	v_fma_f32 v36, -v40, v14, v45
	s_delay_alu instid0(VALU_DEP_3) | instskip(NEXT) | instid1(VALU_DEP_3)
	v_dual_fmac_f32 v25, v19, v33 :: v_dual_fmac_f32 v24, v30, v24
	v_fma_f32 v19, -v16, v34, v22
	v_div_scale_f32 v30, s3, v7, v23, v7
	s_delay_alu instid0(VALU_DEP_3) | instskip(SKIP_1) | instid1(VALU_DEP_4)
	v_fma_f32 v17, -v41, v25, v17
	v_div_fmas_f32 v14, v36, v44, v14
	v_fmac_f32_e32 v34, v19, v2
	v_fmac_f32_e32 v32, v35, v32
	v_div_scale_f32 v35, s4, v6, v29, v6
	s_delay_alu instid0(VALU_DEP_3) | instskip(SKIP_1) | instid1(VALU_DEP_2)
	v_dual_mul_f32 v37, v30, v24 :: v_dual_fma_f32 v16, -v16, v34, v22
	s_mov_b32 vcc_lo, s0
	v_mul_f32_e32 v36, v35, v32
	v_div_fmas_f32 v17, v17, v33, v25
	s_mov_b32 vcc_lo, s2
	v_div_fixup_f32 v5, v14, v29, v5
	s_delay_alu instid0(VALU_DEP_3) | instskip(SKIP_4) | instid1(VALU_DEP_3)
	v_fma_f32 v22, -v28, v36, v35
	v_div_fmas_f32 v2, v16, v2, v34
	s_mov_b32 vcc_lo, s3
	v_div_fixup_f32 v4, v17, v29, v4
	v_div_fixup_f32 v16, v18, v29, v31
	;; [unrolled: 1-line block ×3, first 2 shown]
	s_delay_alu instid0(VALU_DEP_1) | instskip(SKIP_1) | instid1(VALU_DEP_2)
	v_dual_add_f32 v2, v12, v2 :: v_dual_fma_f32 v19, -v15, v37, v30
	v_fmac_f32_e32 v36, v22, v32
	v_fmac_f32_e32 v37, v19, v24
	s_delay_alu instid0(VALU_DEP_1) | instskip(NEXT) | instid1(VALU_DEP_1)
	v_dual_fma_f32 v14, -v15, v37, v30 :: v_dual_fma_f32 v15, -v28, v36, v35
	v_div_fmas_f32 v14, v14, v24, v37
	s_mov_b32 vcc_lo, s4
	s_delay_alu instid0(VALU_DEP_2) | instskip(SKIP_1) | instid1(VALU_DEP_3)
	v_div_fmas_f32 v12, v15, v32, v36
	v_cmp_lt_f32_e32 vcc_lo, v10, v21
	v_div_fixup_f32 v7, v14, v23, v7
	v_pk_add_f32 v[14:15], v[8:9], v[4:5]
	v_mov_b32_e32 v8, v29
	v_div_fixup_f32 v6, v12, v29, v6
	v_cndmask_b32_e32 v10, v10, v21, vcc_lo
	v_cmp_lt_f32_e32 vcc_lo, v1, v3
	v_add_f32_e32 v2, v7, v2
	v_dual_add_f32 v11, v11, v16 :: v_dual_mov_b32 v7, v14
	v_dual_mov_b32 v4, v29 :: v_dual_cndmask_b32 v9, v3, v1
	s_delay_alu instid0(VALU_DEP_3) | instskip(NEXT) | instid1(VALU_DEP_2)
	v_dual_add_f32 v12, v6, v2 :: v_dual_mov_b32 v6, v15
	v_dual_mov_b32 v2, v29 :: v_dual_mov_b32 v5, v9
	v_mov_b32_e32 v3, v9
.LBB18_28:
	s_or_b32 exec_lo, exec_lo, s7
	s_wait_dscnt 0x1
	v_or_b32_e32 v16, 16, v20
	ds_bpermute_b32 v17, v16, v4
	ds_bpermute_b32 v4, v16, v7
	v_add_nc_u32_e32 v7, 4, v13
	ds_bpermute_b32 v18, v16, v5
	ds_bpermute_b32 v1, v16, v10
	ds_bpermute_b32 v19, v16, v11
	ds_bpermute_b32 v5, v16, v6
	ds_bpermute_b32 v6, v16, v12
	v_cmp_gt_u32_e32 vcc_lo, s5, v7
	s_and_saveexec_b32 s5, vcc_lo
	s_cbranch_execz .LBB18_30
; %bb.29:
	v_dual_mov_b32 v20, v8 :: v_dual_mov_b32 v21, v15
	s_wait_dscnt 0x1
	v_dual_mov_b32 v16, v5 :: v_dual_mul_f32 v22, v15, v17
	v_dual_mov_b32 v29, v8 :: v_dual_mul_f32 v32, v17, v17
	v_mov_b32_e32 v28, 0x40400000
	v_pk_add_f32 v[26:27], v[14:15], v[4:5]
	s_delay_alu instid0(VALU_DEP_4) | instskip(SKIP_3) | instid1(VALU_DEP_3)
	v_pk_fma_f32 v[20:21], v[20:21], v[16:17], v[22:23] op_sel_hi:[1,1,0] neg_lo:[0,0,1] neg_hi:[0,0,1]
	v_dual_mov_b32 v16, v8 :: v_dual_sub_f32 v22, v19, v11
	v_dual_sub_f32 v19, v2, v17 :: v_dual_mov_b32 v21, v17
	v_mov_b64_e32 v[34:35], 0x40c0000040800000
	v_pk_mul_f32 v[24:25], v[8:9], v[16:17] op_sel_hi:[0,1]
	s_delay_alu instid0(VALU_DEP_4) | instskip(SKIP_2) | instid1(VALU_DEP_3)
	v_mul_f32_e32 v23, v22, v22
	s_wait_dscnt 0x0
	v_dual_add_f32 v36, v12, v6 :: v_dual_mov_b32 v27, v15
	v_dual_mov_b32 v30, v25 :: v_dual_mov_b32 v33, v8
	s_delay_alu instid0(VALU_DEP_3) | instskip(SKIP_1) | instid1(VALU_DEP_3)
	v_dual_mul_f32 v7, v22, v23 :: v_dual_mov_b32 v6, v17
	v_mov_b32_e32 v25, v5
	v_pk_fma_f32 v[30:31], v[8:9], v[16:17], v[30:31] op_sel_hi:[0,1,1] neg_lo:[0,0,1] neg_hi:[0,0,1]
	s_delay_alu instid0(VALU_DEP_3) | instskip(SKIP_2) | instid1(VALU_DEP_3)
	v_dual_mov_b32 v31, v17 :: v_dual_mul_f32 v16, v2, v7
	v_mul_f32_e32 v7, v22, v7
	v_pk_mul_f32 v[28:29], v[28:29], v[22:23]
	v_pk_add_f32 v[12:13], v[32:33], v[30:31]
	s_delay_alu instid0(VALU_DEP_4) | instskip(NEXT) | instid1(VALU_DEP_4)
	v_dual_mul_f32 v33, v22, v17 :: v_dual_mul_f32 v16, v16, v17
	v_mul_f32_e32 v30, v2, v7
	v_pk_mul_f32 v[22:23], v[22:23], v[34:35]
	s_delay_alu instid0(VALU_DEP_4) | instskip(NEXT) | instid1(VALU_DEP_4)
	v_dual_mov_b32 v31, v13 :: v_dual_mov_b32 v7, v13
	v_mul_f32_e32 v19, v19, v16
	v_div_scale_f32 v2, null, v13, v13, v33
	v_mov_b32_e32 v16, v8
	s_delay_alu instid0(VALU_DEP_4) | instskip(SKIP_1) | instid1(VALU_DEP_4)
	v_pk_mul_f32 v[6:7], v[30:31], v[6:7]
	v_dual_mov_b32 v30, v17 :: v_dual_mov_b32 v31, v32
	v_rcp_f32_e32 v37, v2
	v_pk_mul_f32 v[20:21], v[28:29], v[20:21]
	s_delay_alu instid0(VALU_DEP_3) | instskip(SKIP_1) | instid1(VALU_DEP_3)
	v_div_scale_f32 v38, null, v7, v7, v19
	v_div_scale_f32 v28, vcc_lo, v33, v13, v33
	v_div_scale_f32 v39, null, v13, v13, v21
	s_delay_alu instid0(VALU_DEP_3) | instskip(NEXT) | instid1(TRANS32_DEP_2)
	v_rcp_f32_e32 v32, v38
	v_fma_f32 v17, -v2, v37, 1.0
	v_div_scale_f32 v41, s0, v19, v7, v19
	s_delay_alu instid0(VALU_DEP_3) | instskip(SKIP_1) | instid1(VALU_DEP_3)
	v_rcp_f32_e32 v43, v39
	v_pk_mul_f32 v[14:15], v[14:15], v[30:31]
	v_fmac_f32_e32 v37, v17, v37
	s_delay_alu instid0(TRANS32_DEP_2) | instskip(SKIP_2) | instid1(VALU_DEP_3)
	v_fma_f32 v17, -v38, v32, 1.0
	v_div_scale_f32 v40, null, v13, v13, v20
	v_div_scale_f32 v44, s1, v21, v13, v21
	v_dual_fmac_f32 v32, v17, v32 :: v_dual_mul_f32 v42, v28, v37
	s_delay_alu instid0(VALU_DEP_3) | instskip(NEXT) | instid1(VALU_DEP_1)
	v_rcp_f32_e32 v31, v40
	v_dual_mul_f32 v30, v41, v32 :: v_dual_fma_f32 v29, -v2, v42, v28
	v_mov_b32_e32 v17, v24
	v_fma_f32 v24, -v39, v43, 1.0
	s_delay_alu instid0(TRANS32_DEP_1) | instskip(NEXT) | instid1(VALU_DEP_4)
	v_fma_f32 v45, -v40, v31, 1.0
	v_dual_fmac_f32 v42, v29, v37 :: v_dual_fma_f32 v29, -v38, v30, v41
	s_delay_alu instid0(VALU_DEP_3) | instskip(SKIP_2) | instid1(VALU_DEP_4)
	v_fmac_f32_e32 v43, v24, v43
	v_pk_fma_f32 v[16:17], v[16:17], v[4:5], v[14:15]
	v_pk_fma_f32 v[4:5], v[8:9], v[4:5], v[14:15] neg_lo:[0,0,1] neg_hi:[0,0,1]
	v_dual_fma_f32 v2, -v2, v42, v28 :: v_dual_fmac_f32 v30, v29, v32
	v_pk_mul_f32 v[28:29], v[12:13], v[6:7]
	s_delay_alu instid0(VALU_DEP_4) | instskip(NEXT) | instid1(VALU_DEP_3)
	v_mov_b32_e32 v5, v17
	v_div_fmas_f32 v2, v2, v37, v42
	s_delay_alu instid0(VALU_DEP_4) | instskip(SKIP_3) | instid1(VALU_DEP_3)
	v_fma_f32 v6, -v38, v30, v41
	s_mov_b32 vcc_lo, s0
	v_div_scale_f32 v12, null, v29, v29, v28
	v_pk_mul_f32 v[4:5], v[22:23], v[4:5]
	v_div_fmas_f32 v6, v6, v32, v30
	v_div_scale_f32 v15, s0, v20, v13, v20
	s_mov_b32 vcc_lo, s1
	v_div_scale_f32 v16, null, v7, v7, v5
	v_div_fixup_f32 v24, v6, v7, v19
	v_rcp_f32_e32 v6, v12
	v_div_fixup_f32 v2, v2, v13, v33
	s_delay_alu instid0(VALU_DEP_3) | instskip(NEXT) | instid1(VALU_DEP_2)
	v_rcp_f32_e32 v22, v16
	v_pk_add_f32 v[8:9], v[26:27], v[24:25]
	v_div_scale_f32 v24, null, v13, v13, v4
	s_delay_alu instid0(TRANS32_DEP_2) | instskip(SKIP_1) | instid1(TRANS32_DEP_1)
	v_fma_f32 v19, -v12, v6, 1.0
	v_mul_f32_e32 v14, v44, v43
	v_fma_f32 v25, -v16, v22, 1.0
	s_delay_alu instid0(VALU_DEP_4) | instskip(NEXT) | instid1(VALU_DEP_3)
	v_rcp_f32_e32 v26, v24
	v_dual_fmac_f32 v6, v19, v6 :: v_dual_fmac_f32 v31, v45, v31
	s_delay_alu instid0(VALU_DEP_3) | instskip(SKIP_1) | instid1(VALU_DEP_3)
	v_fma_f32 v17, -v39, v14, v44
	v_div_scale_f32 v19, s2, v28, v29, v28
	v_dual_fmac_f32 v22, v25, v22 :: v_dual_mul_f32 v23, v15, v31
	s_delay_alu instid0(VALU_DEP_2) | instskip(SKIP_1) | instid1(VALU_DEP_2)
	v_dual_fmac_f32 v14, v17, v43 :: v_dual_mul_f32 v27, v19, v6
	v_div_scale_f32 v25, s3, v5, v7, v5
	v_dual_fma_f32 v17, -v40, v23, v15 :: v_dual_fma_f32 v32, -v39, v14, v44
	v_fma_f32 v30, -v24, v26, 1.0
	s_delay_alu instid0(VALU_DEP_3) | instskip(NEXT) | instid1(VALU_DEP_3)
	v_mul_f32_e32 v34, v25, v22
	v_fmac_f32_e32 v23, v17, v31
	s_delay_alu instid0(VALU_DEP_3) | instskip(SKIP_2) | instid1(VALU_DEP_4)
	v_dual_fma_f32 v17, -v12, v27, v19 :: v_dual_fmac_f32 v26, v30, v26
	v_div_scale_f32 v30, s4, v4, v13, v4
	v_div_fmas_f32 v14, v32, v43, v14
	v_fma_f32 v15, -v40, v23, v15
	s_mov_b32 vcc_lo, s0
	s_delay_alu instid0(VALU_DEP_3)
	v_mul_f32_e32 v32, v30, v26
	v_fmac_f32_e32 v27, v17, v6
	v_fma_f32 v17, -v16, v34, v25
	v_div_fmas_f32 v23, v15, v31, v23
	s_mov_b32 vcc_lo, s2
	v_fma_f32 v15, -v24, v32, v30
	s_delay_alu instid0(VALU_DEP_3) | instskip(NEXT) | instid1(VALU_DEP_2)
	v_dual_fma_f32 v12, -v12, v27, v19 :: v_dual_fmac_f32 v34, v17, v22
	v_fmac_f32_e32 v32, v15, v26
	s_delay_alu instid0(VALU_DEP_2) | instskip(NEXT) | instid1(VALU_DEP_3)
	v_div_fmas_f32 v6, v12, v6, v27
	v_fma_f32 v12, -v16, v34, v25
	s_mov_b32 vcc_lo, s3
	v_div_fixup_f32 v15, v14, v13, v21
	v_fma_f32 v16, -v24, v32, v30
	v_div_fixup_f32 v6, v6, v29, v28
	v_div_fmas_f32 v12, v12, v22, v34
	s_mov_b32 vcc_lo, s4
	v_div_fixup_f32 v14, v23, v13, v20
	v_div_fmas_f32 v16, v16, v26, v32
	v_add_f32_e32 v6, v36, v6
	v_div_fixup_f32 v5, v12, v7, v5
	v_cmp_gt_f32_e32 vcc_lo, v3, v18
	v_pk_add_f32 v[14:15], v[8:9], v[14:15]
	v_div_fixup_f32 v4, v16, v13, v4
	v_dual_add_f32 v11, v11, v2 :: v_dual_mov_b32 v2, v13
	v_cndmask_b32_e32 v3, v3, v18, vcc_lo
	v_add_f32_e32 v5, v5, v6
	v_cmp_lt_f32_e32 vcc_lo, v10, v1
	s_delay_alu instid0(VALU_DEP_2)
	v_add_f32_e32 v12, v4, v5
	v_cndmask_b32_e32 v10, v10, v1, vcc_lo
.LBB18_30:
	s_or_b32 exec_lo, exec_lo, s5
.LBB18_31:
	s_delay_alu instid0(SALU_CYCLE_1)
	s_or_b32 exec_lo, exec_lo, s6
.LBB18_32:
	s_delay_alu instid0(SALU_CYCLE_1)
	s_mov_b32 s0, exec_lo
	v_cmpx_eq_u32_e32 0, v0
	s_cbranch_execz .LBB18_37
; %bb.33:
	s_cmp_lg_u64 s[10:11], 0
	s_cbranch_scc0 .LBB18_38
; %bb.34:
	s_wait_dscnt 0x0
	v_dual_mov_b32 v7, v14 :: v_dual_mov_b32 v6, v15
	v_mov_b64_e32 v[4:5], v[10:11]
	v_mov_b32_e32 v8, v12
	s_cbranch_execnz .LBB18_36
.LBB18_35:
	v_mov_b64_e32 v[2:3], s[16:17]
	s_wait_dscnt 0x0
	v_dual_mov_b32 v6, s20 :: v_dual_mov_b32 v7, s21
.LBB18_36:
	s_mul_u64 s[0:1], s[24:25], s[14:15]
	v_mov_b32_e32 v0, 0
	s_mul_u64 s[0:1], s[0:1], 28
	s_mul_u64 s[2:3], s[8:9], 28
	s_add_nc_u64 s[0:1], s[12:13], s[0:1]
	s_delay_alu instid0(SALU_CYCLE_1)
	s_add_nc_u64 s[0:1], s[0:1], s[2:3]
	global_store_b128 v0, v[2:5], s[0:1]
	s_wait_dscnt 0x0
	global_store_b96 v0, v[6:8], s[0:1] offset:16
.LBB18_37:
	s_endpgm
.LBB18_38:
	s_wait_dscnt 0x1
	v_mov_b64_e32 v[4:5], s[18:19]
	v_mov_b32_e32 v8, s22
	s_branch .LBB18_35
	.section	.rodata,"a",@progbits
	.p2align	6, 0x0
	.amdhsa_kernel _ZN7rocprim17ROCPRIM_400000_NS6detail17trampoline_kernelINS0_14default_configENS1_22reduce_config_selectorI18summary_stats_dataIfEEEZNS1_11reduce_implILb1ES3_N6thrust23THRUST_200600_302600_NS11hip_rocprim26transform_input_iterator_tIS6_NSA_6detail15normal_iteratorINSA_10device_ptrIfEEEE22summary_stats_unary_opIfEEEPS6_S6_23summary_stats_binary_opIfEEE10hipError_tPvRmT1_T2_T3_mT4_P12ihipStream_tbEUlT_E0_NS1_11comp_targetILNS1_3genE0ELNS1_11target_archE4294967295ELNS1_3gpuE0ELNS1_3repE0EEENS1_30default_config_static_selectorELNS0_4arch9wavefront6targetE0EEEvSR_
		.amdhsa_group_segment_fixed_size 448
		.amdhsa_private_segment_fixed_size 0
		.amdhsa_kernarg_size 88
		.amdhsa_user_sgpr_count 2
		.amdhsa_user_sgpr_dispatch_ptr 0
		.amdhsa_user_sgpr_queue_ptr 0
		.amdhsa_user_sgpr_kernarg_segment_ptr 1
		.amdhsa_user_sgpr_dispatch_id 0
		.amdhsa_user_sgpr_kernarg_preload_length 0
		.amdhsa_user_sgpr_kernarg_preload_offset 0
		.amdhsa_user_sgpr_private_segment_size 0
		.amdhsa_wavefront_size32 1
		.amdhsa_uses_dynamic_stack 0
		.amdhsa_enable_private_segment 0
		.amdhsa_system_sgpr_workgroup_id_x 1
		.amdhsa_system_sgpr_workgroup_id_y 0
		.amdhsa_system_sgpr_workgroup_id_z 0
		.amdhsa_system_sgpr_workgroup_info 0
		.amdhsa_system_vgpr_workitem_id 0
		.amdhsa_next_free_vgpr 58
		.amdhsa_next_free_sgpr 30
		.amdhsa_named_barrier_count 0
		.amdhsa_reserve_vcc 1
		.amdhsa_float_round_mode_32 0
		.amdhsa_float_round_mode_16_64 0
		.amdhsa_float_denorm_mode_32 3
		.amdhsa_float_denorm_mode_16_64 3
		.amdhsa_fp16_overflow 0
		.amdhsa_memory_ordered 1
		.amdhsa_forward_progress 1
		.amdhsa_inst_pref_size 138
		.amdhsa_round_robin_scheduling 0
		.amdhsa_exception_fp_ieee_invalid_op 0
		.amdhsa_exception_fp_denorm_src 0
		.amdhsa_exception_fp_ieee_div_zero 0
		.amdhsa_exception_fp_ieee_overflow 0
		.amdhsa_exception_fp_ieee_underflow 0
		.amdhsa_exception_fp_ieee_inexact 0
		.amdhsa_exception_int_div_zero 0
	.end_amdhsa_kernel
	.section	.text._ZN7rocprim17ROCPRIM_400000_NS6detail17trampoline_kernelINS0_14default_configENS1_22reduce_config_selectorI18summary_stats_dataIfEEEZNS1_11reduce_implILb1ES3_N6thrust23THRUST_200600_302600_NS11hip_rocprim26transform_input_iterator_tIS6_NSA_6detail15normal_iteratorINSA_10device_ptrIfEEEE22summary_stats_unary_opIfEEEPS6_S6_23summary_stats_binary_opIfEEE10hipError_tPvRmT1_T2_T3_mT4_P12ihipStream_tbEUlT_E0_NS1_11comp_targetILNS1_3genE0ELNS1_11target_archE4294967295ELNS1_3gpuE0ELNS1_3repE0EEENS1_30default_config_static_selectorELNS0_4arch9wavefront6targetE0EEEvSR_,"axG",@progbits,_ZN7rocprim17ROCPRIM_400000_NS6detail17trampoline_kernelINS0_14default_configENS1_22reduce_config_selectorI18summary_stats_dataIfEEEZNS1_11reduce_implILb1ES3_N6thrust23THRUST_200600_302600_NS11hip_rocprim26transform_input_iterator_tIS6_NSA_6detail15normal_iteratorINSA_10device_ptrIfEEEE22summary_stats_unary_opIfEEEPS6_S6_23summary_stats_binary_opIfEEE10hipError_tPvRmT1_T2_T3_mT4_P12ihipStream_tbEUlT_E0_NS1_11comp_targetILNS1_3genE0ELNS1_11target_archE4294967295ELNS1_3gpuE0ELNS1_3repE0EEENS1_30default_config_static_selectorELNS0_4arch9wavefront6targetE0EEEvSR_,comdat
.Lfunc_end18:
	.size	_ZN7rocprim17ROCPRIM_400000_NS6detail17trampoline_kernelINS0_14default_configENS1_22reduce_config_selectorI18summary_stats_dataIfEEEZNS1_11reduce_implILb1ES3_N6thrust23THRUST_200600_302600_NS11hip_rocprim26transform_input_iterator_tIS6_NSA_6detail15normal_iteratorINSA_10device_ptrIfEEEE22summary_stats_unary_opIfEEEPS6_S6_23summary_stats_binary_opIfEEE10hipError_tPvRmT1_T2_T3_mT4_P12ihipStream_tbEUlT_E0_NS1_11comp_targetILNS1_3genE0ELNS1_11target_archE4294967295ELNS1_3gpuE0ELNS1_3repE0EEENS1_30default_config_static_selectorELNS0_4arch9wavefront6targetE0EEEvSR_, .Lfunc_end18-_ZN7rocprim17ROCPRIM_400000_NS6detail17trampoline_kernelINS0_14default_configENS1_22reduce_config_selectorI18summary_stats_dataIfEEEZNS1_11reduce_implILb1ES3_N6thrust23THRUST_200600_302600_NS11hip_rocprim26transform_input_iterator_tIS6_NSA_6detail15normal_iteratorINSA_10device_ptrIfEEEE22summary_stats_unary_opIfEEEPS6_S6_23summary_stats_binary_opIfEEE10hipError_tPvRmT1_T2_T3_mT4_P12ihipStream_tbEUlT_E0_NS1_11comp_targetILNS1_3genE0ELNS1_11target_archE4294967295ELNS1_3gpuE0ELNS1_3repE0EEENS1_30default_config_static_selectorELNS0_4arch9wavefront6targetE0EEEvSR_
                                        ; -- End function
	.set _ZN7rocprim17ROCPRIM_400000_NS6detail17trampoline_kernelINS0_14default_configENS1_22reduce_config_selectorI18summary_stats_dataIfEEEZNS1_11reduce_implILb1ES3_N6thrust23THRUST_200600_302600_NS11hip_rocprim26transform_input_iterator_tIS6_NSA_6detail15normal_iteratorINSA_10device_ptrIfEEEE22summary_stats_unary_opIfEEEPS6_S6_23summary_stats_binary_opIfEEE10hipError_tPvRmT1_T2_T3_mT4_P12ihipStream_tbEUlT_E0_NS1_11comp_targetILNS1_3genE0ELNS1_11target_archE4294967295ELNS1_3gpuE0ELNS1_3repE0EEENS1_30default_config_static_selectorELNS0_4arch9wavefront6targetE0EEEvSR_.num_vgpr, 58
	.set _ZN7rocprim17ROCPRIM_400000_NS6detail17trampoline_kernelINS0_14default_configENS1_22reduce_config_selectorI18summary_stats_dataIfEEEZNS1_11reduce_implILb1ES3_N6thrust23THRUST_200600_302600_NS11hip_rocprim26transform_input_iterator_tIS6_NSA_6detail15normal_iteratorINSA_10device_ptrIfEEEE22summary_stats_unary_opIfEEEPS6_S6_23summary_stats_binary_opIfEEE10hipError_tPvRmT1_T2_T3_mT4_P12ihipStream_tbEUlT_E0_NS1_11comp_targetILNS1_3genE0ELNS1_11target_archE4294967295ELNS1_3gpuE0ELNS1_3repE0EEENS1_30default_config_static_selectorELNS0_4arch9wavefront6targetE0EEEvSR_.num_agpr, 0
	.set _ZN7rocprim17ROCPRIM_400000_NS6detail17trampoline_kernelINS0_14default_configENS1_22reduce_config_selectorI18summary_stats_dataIfEEEZNS1_11reduce_implILb1ES3_N6thrust23THRUST_200600_302600_NS11hip_rocprim26transform_input_iterator_tIS6_NSA_6detail15normal_iteratorINSA_10device_ptrIfEEEE22summary_stats_unary_opIfEEEPS6_S6_23summary_stats_binary_opIfEEE10hipError_tPvRmT1_T2_T3_mT4_P12ihipStream_tbEUlT_E0_NS1_11comp_targetILNS1_3genE0ELNS1_11target_archE4294967295ELNS1_3gpuE0ELNS1_3repE0EEENS1_30default_config_static_selectorELNS0_4arch9wavefront6targetE0EEEvSR_.numbered_sgpr, 30
	.set _ZN7rocprim17ROCPRIM_400000_NS6detail17trampoline_kernelINS0_14default_configENS1_22reduce_config_selectorI18summary_stats_dataIfEEEZNS1_11reduce_implILb1ES3_N6thrust23THRUST_200600_302600_NS11hip_rocprim26transform_input_iterator_tIS6_NSA_6detail15normal_iteratorINSA_10device_ptrIfEEEE22summary_stats_unary_opIfEEEPS6_S6_23summary_stats_binary_opIfEEE10hipError_tPvRmT1_T2_T3_mT4_P12ihipStream_tbEUlT_E0_NS1_11comp_targetILNS1_3genE0ELNS1_11target_archE4294967295ELNS1_3gpuE0ELNS1_3repE0EEENS1_30default_config_static_selectorELNS0_4arch9wavefront6targetE0EEEvSR_.num_named_barrier, 0
	.set _ZN7rocprim17ROCPRIM_400000_NS6detail17trampoline_kernelINS0_14default_configENS1_22reduce_config_selectorI18summary_stats_dataIfEEEZNS1_11reduce_implILb1ES3_N6thrust23THRUST_200600_302600_NS11hip_rocprim26transform_input_iterator_tIS6_NSA_6detail15normal_iteratorINSA_10device_ptrIfEEEE22summary_stats_unary_opIfEEEPS6_S6_23summary_stats_binary_opIfEEE10hipError_tPvRmT1_T2_T3_mT4_P12ihipStream_tbEUlT_E0_NS1_11comp_targetILNS1_3genE0ELNS1_11target_archE4294967295ELNS1_3gpuE0ELNS1_3repE0EEENS1_30default_config_static_selectorELNS0_4arch9wavefront6targetE0EEEvSR_.private_seg_size, 0
	.set _ZN7rocprim17ROCPRIM_400000_NS6detail17trampoline_kernelINS0_14default_configENS1_22reduce_config_selectorI18summary_stats_dataIfEEEZNS1_11reduce_implILb1ES3_N6thrust23THRUST_200600_302600_NS11hip_rocprim26transform_input_iterator_tIS6_NSA_6detail15normal_iteratorINSA_10device_ptrIfEEEE22summary_stats_unary_opIfEEEPS6_S6_23summary_stats_binary_opIfEEE10hipError_tPvRmT1_T2_T3_mT4_P12ihipStream_tbEUlT_E0_NS1_11comp_targetILNS1_3genE0ELNS1_11target_archE4294967295ELNS1_3gpuE0ELNS1_3repE0EEENS1_30default_config_static_selectorELNS0_4arch9wavefront6targetE0EEEvSR_.uses_vcc, 1
	.set _ZN7rocprim17ROCPRIM_400000_NS6detail17trampoline_kernelINS0_14default_configENS1_22reduce_config_selectorI18summary_stats_dataIfEEEZNS1_11reduce_implILb1ES3_N6thrust23THRUST_200600_302600_NS11hip_rocprim26transform_input_iterator_tIS6_NSA_6detail15normal_iteratorINSA_10device_ptrIfEEEE22summary_stats_unary_opIfEEEPS6_S6_23summary_stats_binary_opIfEEE10hipError_tPvRmT1_T2_T3_mT4_P12ihipStream_tbEUlT_E0_NS1_11comp_targetILNS1_3genE0ELNS1_11target_archE4294967295ELNS1_3gpuE0ELNS1_3repE0EEENS1_30default_config_static_selectorELNS0_4arch9wavefront6targetE0EEEvSR_.uses_flat_scratch, 1
	.set _ZN7rocprim17ROCPRIM_400000_NS6detail17trampoline_kernelINS0_14default_configENS1_22reduce_config_selectorI18summary_stats_dataIfEEEZNS1_11reduce_implILb1ES3_N6thrust23THRUST_200600_302600_NS11hip_rocprim26transform_input_iterator_tIS6_NSA_6detail15normal_iteratorINSA_10device_ptrIfEEEE22summary_stats_unary_opIfEEEPS6_S6_23summary_stats_binary_opIfEEE10hipError_tPvRmT1_T2_T3_mT4_P12ihipStream_tbEUlT_E0_NS1_11comp_targetILNS1_3genE0ELNS1_11target_archE4294967295ELNS1_3gpuE0ELNS1_3repE0EEENS1_30default_config_static_selectorELNS0_4arch9wavefront6targetE0EEEvSR_.has_dyn_sized_stack, 0
	.set _ZN7rocprim17ROCPRIM_400000_NS6detail17trampoline_kernelINS0_14default_configENS1_22reduce_config_selectorI18summary_stats_dataIfEEEZNS1_11reduce_implILb1ES3_N6thrust23THRUST_200600_302600_NS11hip_rocprim26transform_input_iterator_tIS6_NSA_6detail15normal_iteratorINSA_10device_ptrIfEEEE22summary_stats_unary_opIfEEEPS6_S6_23summary_stats_binary_opIfEEE10hipError_tPvRmT1_T2_T3_mT4_P12ihipStream_tbEUlT_E0_NS1_11comp_targetILNS1_3genE0ELNS1_11target_archE4294967295ELNS1_3gpuE0ELNS1_3repE0EEENS1_30default_config_static_selectorELNS0_4arch9wavefront6targetE0EEEvSR_.has_recursion, 0
	.set _ZN7rocprim17ROCPRIM_400000_NS6detail17trampoline_kernelINS0_14default_configENS1_22reduce_config_selectorI18summary_stats_dataIfEEEZNS1_11reduce_implILb1ES3_N6thrust23THRUST_200600_302600_NS11hip_rocprim26transform_input_iterator_tIS6_NSA_6detail15normal_iteratorINSA_10device_ptrIfEEEE22summary_stats_unary_opIfEEEPS6_S6_23summary_stats_binary_opIfEEE10hipError_tPvRmT1_T2_T3_mT4_P12ihipStream_tbEUlT_E0_NS1_11comp_targetILNS1_3genE0ELNS1_11target_archE4294967295ELNS1_3gpuE0ELNS1_3repE0EEENS1_30default_config_static_selectorELNS0_4arch9wavefront6targetE0EEEvSR_.has_indirect_call, 0
	.section	.AMDGPU.csdata,"",@progbits
; Kernel info:
; codeLenInByte = 17552
; TotalNumSgprs: 32
; NumVgprs: 58
; ScratchSize: 0
; MemoryBound: 0
; FloatMode: 240
; IeeeMode: 1
; LDSByteSize: 448 bytes/workgroup (compile time only)
; SGPRBlocks: 0
; VGPRBlocks: 3
; NumSGPRsForWavesPerEU: 32
; NumVGPRsForWavesPerEU: 58
; NamedBarCnt: 0
; Occupancy: 16
; WaveLimiterHint : 0
; COMPUTE_PGM_RSRC2:SCRATCH_EN: 0
; COMPUTE_PGM_RSRC2:USER_SGPR: 2
; COMPUTE_PGM_RSRC2:TRAP_HANDLER: 0
; COMPUTE_PGM_RSRC2:TGID_X_EN: 1
; COMPUTE_PGM_RSRC2:TGID_Y_EN: 0
; COMPUTE_PGM_RSRC2:TGID_Z_EN: 0
; COMPUTE_PGM_RSRC2:TIDIG_COMP_CNT: 0
	.section	.text._ZN7rocprim17ROCPRIM_400000_NS6detail17trampoline_kernelINS0_14default_configENS1_22reduce_config_selectorI18summary_stats_dataIfEEEZNS1_11reduce_implILb1ES3_N6thrust23THRUST_200600_302600_NS11hip_rocprim26transform_input_iterator_tIS6_NSA_6detail15normal_iteratorINSA_10device_ptrIfEEEE22summary_stats_unary_opIfEEEPS6_S6_23summary_stats_binary_opIfEEE10hipError_tPvRmT1_T2_T3_mT4_P12ihipStream_tbEUlT_E0_NS1_11comp_targetILNS1_3genE5ELNS1_11target_archE942ELNS1_3gpuE9ELNS1_3repE0EEENS1_30default_config_static_selectorELNS0_4arch9wavefront6targetE0EEEvSR_,"axG",@progbits,_ZN7rocprim17ROCPRIM_400000_NS6detail17trampoline_kernelINS0_14default_configENS1_22reduce_config_selectorI18summary_stats_dataIfEEEZNS1_11reduce_implILb1ES3_N6thrust23THRUST_200600_302600_NS11hip_rocprim26transform_input_iterator_tIS6_NSA_6detail15normal_iteratorINSA_10device_ptrIfEEEE22summary_stats_unary_opIfEEEPS6_S6_23summary_stats_binary_opIfEEE10hipError_tPvRmT1_T2_T3_mT4_P12ihipStream_tbEUlT_E0_NS1_11comp_targetILNS1_3genE5ELNS1_11target_archE942ELNS1_3gpuE9ELNS1_3repE0EEENS1_30default_config_static_selectorELNS0_4arch9wavefront6targetE0EEEvSR_,comdat
	.protected	_ZN7rocprim17ROCPRIM_400000_NS6detail17trampoline_kernelINS0_14default_configENS1_22reduce_config_selectorI18summary_stats_dataIfEEEZNS1_11reduce_implILb1ES3_N6thrust23THRUST_200600_302600_NS11hip_rocprim26transform_input_iterator_tIS6_NSA_6detail15normal_iteratorINSA_10device_ptrIfEEEE22summary_stats_unary_opIfEEEPS6_S6_23summary_stats_binary_opIfEEE10hipError_tPvRmT1_T2_T3_mT4_P12ihipStream_tbEUlT_E0_NS1_11comp_targetILNS1_3genE5ELNS1_11target_archE942ELNS1_3gpuE9ELNS1_3repE0EEENS1_30default_config_static_selectorELNS0_4arch9wavefront6targetE0EEEvSR_ ; -- Begin function _ZN7rocprim17ROCPRIM_400000_NS6detail17trampoline_kernelINS0_14default_configENS1_22reduce_config_selectorI18summary_stats_dataIfEEEZNS1_11reduce_implILb1ES3_N6thrust23THRUST_200600_302600_NS11hip_rocprim26transform_input_iterator_tIS6_NSA_6detail15normal_iteratorINSA_10device_ptrIfEEEE22summary_stats_unary_opIfEEEPS6_S6_23summary_stats_binary_opIfEEE10hipError_tPvRmT1_T2_T3_mT4_P12ihipStream_tbEUlT_E0_NS1_11comp_targetILNS1_3genE5ELNS1_11target_archE942ELNS1_3gpuE9ELNS1_3repE0EEENS1_30default_config_static_selectorELNS0_4arch9wavefront6targetE0EEEvSR_
	.globl	_ZN7rocprim17ROCPRIM_400000_NS6detail17trampoline_kernelINS0_14default_configENS1_22reduce_config_selectorI18summary_stats_dataIfEEEZNS1_11reduce_implILb1ES3_N6thrust23THRUST_200600_302600_NS11hip_rocprim26transform_input_iterator_tIS6_NSA_6detail15normal_iteratorINSA_10device_ptrIfEEEE22summary_stats_unary_opIfEEEPS6_S6_23summary_stats_binary_opIfEEE10hipError_tPvRmT1_T2_T3_mT4_P12ihipStream_tbEUlT_E0_NS1_11comp_targetILNS1_3genE5ELNS1_11target_archE942ELNS1_3gpuE9ELNS1_3repE0EEENS1_30default_config_static_selectorELNS0_4arch9wavefront6targetE0EEEvSR_
	.p2align	8
	.type	_ZN7rocprim17ROCPRIM_400000_NS6detail17trampoline_kernelINS0_14default_configENS1_22reduce_config_selectorI18summary_stats_dataIfEEEZNS1_11reduce_implILb1ES3_N6thrust23THRUST_200600_302600_NS11hip_rocprim26transform_input_iterator_tIS6_NSA_6detail15normal_iteratorINSA_10device_ptrIfEEEE22summary_stats_unary_opIfEEEPS6_S6_23summary_stats_binary_opIfEEE10hipError_tPvRmT1_T2_T3_mT4_P12ihipStream_tbEUlT_E0_NS1_11comp_targetILNS1_3genE5ELNS1_11target_archE942ELNS1_3gpuE9ELNS1_3repE0EEENS1_30default_config_static_selectorELNS0_4arch9wavefront6targetE0EEEvSR_,@function
_ZN7rocprim17ROCPRIM_400000_NS6detail17trampoline_kernelINS0_14default_configENS1_22reduce_config_selectorI18summary_stats_dataIfEEEZNS1_11reduce_implILb1ES3_N6thrust23THRUST_200600_302600_NS11hip_rocprim26transform_input_iterator_tIS6_NSA_6detail15normal_iteratorINSA_10device_ptrIfEEEE22summary_stats_unary_opIfEEEPS6_S6_23summary_stats_binary_opIfEEE10hipError_tPvRmT1_T2_T3_mT4_P12ihipStream_tbEUlT_E0_NS1_11comp_targetILNS1_3genE5ELNS1_11target_archE942ELNS1_3gpuE9ELNS1_3repE0EEENS1_30default_config_static_selectorELNS0_4arch9wavefront6targetE0EEEvSR_: ; @_ZN7rocprim17ROCPRIM_400000_NS6detail17trampoline_kernelINS0_14default_configENS1_22reduce_config_selectorI18summary_stats_dataIfEEEZNS1_11reduce_implILb1ES3_N6thrust23THRUST_200600_302600_NS11hip_rocprim26transform_input_iterator_tIS6_NSA_6detail15normal_iteratorINSA_10device_ptrIfEEEE22summary_stats_unary_opIfEEEPS6_S6_23summary_stats_binary_opIfEEE10hipError_tPvRmT1_T2_T3_mT4_P12ihipStream_tbEUlT_E0_NS1_11comp_targetILNS1_3genE5ELNS1_11target_archE942ELNS1_3gpuE9ELNS1_3repE0EEENS1_30default_config_static_selectorELNS0_4arch9wavefront6targetE0EEEvSR_
; %bb.0:
	.section	.rodata,"a",@progbits
	.p2align	6, 0x0
	.amdhsa_kernel _ZN7rocprim17ROCPRIM_400000_NS6detail17trampoline_kernelINS0_14default_configENS1_22reduce_config_selectorI18summary_stats_dataIfEEEZNS1_11reduce_implILb1ES3_N6thrust23THRUST_200600_302600_NS11hip_rocprim26transform_input_iterator_tIS6_NSA_6detail15normal_iteratorINSA_10device_ptrIfEEEE22summary_stats_unary_opIfEEEPS6_S6_23summary_stats_binary_opIfEEE10hipError_tPvRmT1_T2_T3_mT4_P12ihipStream_tbEUlT_E0_NS1_11comp_targetILNS1_3genE5ELNS1_11target_archE942ELNS1_3gpuE9ELNS1_3repE0EEENS1_30default_config_static_selectorELNS0_4arch9wavefront6targetE0EEEvSR_
		.amdhsa_group_segment_fixed_size 0
		.amdhsa_private_segment_fixed_size 0
		.amdhsa_kernarg_size 88
		.amdhsa_user_sgpr_count 2
		.amdhsa_user_sgpr_dispatch_ptr 0
		.amdhsa_user_sgpr_queue_ptr 0
		.amdhsa_user_sgpr_kernarg_segment_ptr 1
		.amdhsa_user_sgpr_dispatch_id 0
		.amdhsa_user_sgpr_kernarg_preload_length 0
		.amdhsa_user_sgpr_kernarg_preload_offset 0
		.amdhsa_user_sgpr_private_segment_size 0
		.amdhsa_wavefront_size32 1
		.amdhsa_uses_dynamic_stack 0
		.amdhsa_enable_private_segment 0
		.amdhsa_system_sgpr_workgroup_id_x 1
		.amdhsa_system_sgpr_workgroup_id_y 0
		.amdhsa_system_sgpr_workgroup_id_z 0
		.amdhsa_system_sgpr_workgroup_info 0
		.amdhsa_system_vgpr_workitem_id 0
		.amdhsa_next_free_vgpr 1
		.amdhsa_next_free_sgpr 1
		.amdhsa_named_barrier_count 0
		.amdhsa_reserve_vcc 0
		.amdhsa_float_round_mode_32 0
		.amdhsa_float_round_mode_16_64 0
		.amdhsa_float_denorm_mode_32 3
		.amdhsa_float_denorm_mode_16_64 3
		.amdhsa_fp16_overflow 0
		.amdhsa_memory_ordered 1
		.amdhsa_forward_progress 1
		.amdhsa_inst_pref_size 0
		.amdhsa_round_robin_scheduling 0
		.amdhsa_exception_fp_ieee_invalid_op 0
		.amdhsa_exception_fp_denorm_src 0
		.amdhsa_exception_fp_ieee_div_zero 0
		.amdhsa_exception_fp_ieee_overflow 0
		.amdhsa_exception_fp_ieee_underflow 0
		.amdhsa_exception_fp_ieee_inexact 0
		.amdhsa_exception_int_div_zero 0
	.end_amdhsa_kernel
	.section	.text._ZN7rocprim17ROCPRIM_400000_NS6detail17trampoline_kernelINS0_14default_configENS1_22reduce_config_selectorI18summary_stats_dataIfEEEZNS1_11reduce_implILb1ES3_N6thrust23THRUST_200600_302600_NS11hip_rocprim26transform_input_iterator_tIS6_NSA_6detail15normal_iteratorINSA_10device_ptrIfEEEE22summary_stats_unary_opIfEEEPS6_S6_23summary_stats_binary_opIfEEE10hipError_tPvRmT1_T2_T3_mT4_P12ihipStream_tbEUlT_E0_NS1_11comp_targetILNS1_3genE5ELNS1_11target_archE942ELNS1_3gpuE9ELNS1_3repE0EEENS1_30default_config_static_selectorELNS0_4arch9wavefront6targetE0EEEvSR_,"axG",@progbits,_ZN7rocprim17ROCPRIM_400000_NS6detail17trampoline_kernelINS0_14default_configENS1_22reduce_config_selectorI18summary_stats_dataIfEEEZNS1_11reduce_implILb1ES3_N6thrust23THRUST_200600_302600_NS11hip_rocprim26transform_input_iterator_tIS6_NSA_6detail15normal_iteratorINSA_10device_ptrIfEEEE22summary_stats_unary_opIfEEEPS6_S6_23summary_stats_binary_opIfEEE10hipError_tPvRmT1_T2_T3_mT4_P12ihipStream_tbEUlT_E0_NS1_11comp_targetILNS1_3genE5ELNS1_11target_archE942ELNS1_3gpuE9ELNS1_3repE0EEENS1_30default_config_static_selectorELNS0_4arch9wavefront6targetE0EEEvSR_,comdat
.Lfunc_end19:
	.size	_ZN7rocprim17ROCPRIM_400000_NS6detail17trampoline_kernelINS0_14default_configENS1_22reduce_config_selectorI18summary_stats_dataIfEEEZNS1_11reduce_implILb1ES3_N6thrust23THRUST_200600_302600_NS11hip_rocprim26transform_input_iterator_tIS6_NSA_6detail15normal_iteratorINSA_10device_ptrIfEEEE22summary_stats_unary_opIfEEEPS6_S6_23summary_stats_binary_opIfEEE10hipError_tPvRmT1_T2_T3_mT4_P12ihipStream_tbEUlT_E0_NS1_11comp_targetILNS1_3genE5ELNS1_11target_archE942ELNS1_3gpuE9ELNS1_3repE0EEENS1_30default_config_static_selectorELNS0_4arch9wavefront6targetE0EEEvSR_, .Lfunc_end19-_ZN7rocprim17ROCPRIM_400000_NS6detail17trampoline_kernelINS0_14default_configENS1_22reduce_config_selectorI18summary_stats_dataIfEEEZNS1_11reduce_implILb1ES3_N6thrust23THRUST_200600_302600_NS11hip_rocprim26transform_input_iterator_tIS6_NSA_6detail15normal_iteratorINSA_10device_ptrIfEEEE22summary_stats_unary_opIfEEEPS6_S6_23summary_stats_binary_opIfEEE10hipError_tPvRmT1_T2_T3_mT4_P12ihipStream_tbEUlT_E0_NS1_11comp_targetILNS1_3genE5ELNS1_11target_archE942ELNS1_3gpuE9ELNS1_3repE0EEENS1_30default_config_static_selectorELNS0_4arch9wavefront6targetE0EEEvSR_
                                        ; -- End function
	.set _ZN7rocprim17ROCPRIM_400000_NS6detail17trampoline_kernelINS0_14default_configENS1_22reduce_config_selectorI18summary_stats_dataIfEEEZNS1_11reduce_implILb1ES3_N6thrust23THRUST_200600_302600_NS11hip_rocprim26transform_input_iterator_tIS6_NSA_6detail15normal_iteratorINSA_10device_ptrIfEEEE22summary_stats_unary_opIfEEEPS6_S6_23summary_stats_binary_opIfEEE10hipError_tPvRmT1_T2_T3_mT4_P12ihipStream_tbEUlT_E0_NS1_11comp_targetILNS1_3genE5ELNS1_11target_archE942ELNS1_3gpuE9ELNS1_3repE0EEENS1_30default_config_static_selectorELNS0_4arch9wavefront6targetE0EEEvSR_.num_vgpr, 0
	.set _ZN7rocprim17ROCPRIM_400000_NS6detail17trampoline_kernelINS0_14default_configENS1_22reduce_config_selectorI18summary_stats_dataIfEEEZNS1_11reduce_implILb1ES3_N6thrust23THRUST_200600_302600_NS11hip_rocprim26transform_input_iterator_tIS6_NSA_6detail15normal_iteratorINSA_10device_ptrIfEEEE22summary_stats_unary_opIfEEEPS6_S6_23summary_stats_binary_opIfEEE10hipError_tPvRmT1_T2_T3_mT4_P12ihipStream_tbEUlT_E0_NS1_11comp_targetILNS1_3genE5ELNS1_11target_archE942ELNS1_3gpuE9ELNS1_3repE0EEENS1_30default_config_static_selectorELNS0_4arch9wavefront6targetE0EEEvSR_.num_agpr, 0
	.set _ZN7rocprim17ROCPRIM_400000_NS6detail17trampoline_kernelINS0_14default_configENS1_22reduce_config_selectorI18summary_stats_dataIfEEEZNS1_11reduce_implILb1ES3_N6thrust23THRUST_200600_302600_NS11hip_rocprim26transform_input_iterator_tIS6_NSA_6detail15normal_iteratorINSA_10device_ptrIfEEEE22summary_stats_unary_opIfEEEPS6_S6_23summary_stats_binary_opIfEEE10hipError_tPvRmT1_T2_T3_mT4_P12ihipStream_tbEUlT_E0_NS1_11comp_targetILNS1_3genE5ELNS1_11target_archE942ELNS1_3gpuE9ELNS1_3repE0EEENS1_30default_config_static_selectorELNS0_4arch9wavefront6targetE0EEEvSR_.numbered_sgpr, 0
	.set _ZN7rocprim17ROCPRIM_400000_NS6detail17trampoline_kernelINS0_14default_configENS1_22reduce_config_selectorI18summary_stats_dataIfEEEZNS1_11reduce_implILb1ES3_N6thrust23THRUST_200600_302600_NS11hip_rocprim26transform_input_iterator_tIS6_NSA_6detail15normal_iteratorINSA_10device_ptrIfEEEE22summary_stats_unary_opIfEEEPS6_S6_23summary_stats_binary_opIfEEE10hipError_tPvRmT1_T2_T3_mT4_P12ihipStream_tbEUlT_E0_NS1_11comp_targetILNS1_3genE5ELNS1_11target_archE942ELNS1_3gpuE9ELNS1_3repE0EEENS1_30default_config_static_selectorELNS0_4arch9wavefront6targetE0EEEvSR_.num_named_barrier, 0
	.set _ZN7rocprim17ROCPRIM_400000_NS6detail17trampoline_kernelINS0_14default_configENS1_22reduce_config_selectorI18summary_stats_dataIfEEEZNS1_11reduce_implILb1ES3_N6thrust23THRUST_200600_302600_NS11hip_rocprim26transform_input_iterator_tIS6_NSA_6detail15normal_iteratorINSA_10device_ptrIfEEEE22summary_stats_unary_opIfEEEPS6_S6_23summary_stats_binary_opIfEEE10hipError_tPvRmT1_T2_T3_mT4_P12ihipStream_tbEUlT_E0_NS1_11comp_targetILNS1_3genE5ELNS1_11target_archE942ELNS1_3gpuE9ELNS1_3repE0EEENS1_30default_config_static_selectorELNS0_4arch9wavefront6targetE0EEEvSR_.private_seg_size, 0
	.set _ZN7rocprim17ROCPRIM_400000_NS6detail17trampoline_kernelINS0_14default_configENS1_22reduce_config_selectorI18summary_stats_dataIfEEEZNS1_11reduce_implILb1ES3_N6thrust23THRUST_200600_302600_NS11hip_rocprim26transform_input_iterator_tIS6_NSA_6detail15normal_iteratorINSA_10device_ptrIfEEEE22summary_stats_unary_opIfEEEPS6_S6_23summary_stats_binary_opIfEEE10hipError_tPvRmT1_T2_T3_mT4_P12ihipStream_tbEUlT_E0_NS1_11comp_targetILNS1_3genE5ELNS1_11target_archE942ELNS1_3gpuE9ELNS1_3repE0EEENS1_30default_config_static_selectorELNS0_4arch9wavefront6targetE0EEEvSR_.uses_vcc, 0
	.set _ZN7rocprim17ROCPRIM_400000_NS6detail17trampoline_kernelINS0_14default_configENS1_22reduce_config_selectorI18summary_stats_dataIfEEEZNS1_11reduce_implILb1ES3_N6thrust23THRUST_200600_302600_NS11hip_rocprim26transform_input_iterator_tIS6_NSA_6detail15normal_iteratorINSA_10device_ptrIfEEEE22summary_stats_unary_opIfEEEPS6_S6_23summary_stats_binary_opIfEEE10hipError_tPvRmT1_T2_T3_mT4_P12ihipStream_tbEUlT_E0_NS1_11comp_targetILNS1_3genE5ELNS1_11target_archE942ELNS1_3gpuE9ELNS1_3repE0EEENS1_30default_config_static_selectorELNS0_4arch9wavefront6targetE0EEEvSR_.uses_flat_scratch, 0
	.set _ZN7rocprim17ROCPRIM_400000_NS6detail17trampoline_kernelINS0_14default_configENS1_22reduce_config_selectorI18summary_stats_dataIfEEEZNS1_11reduce_implILb1ES3_N6thrust23THRUST_200600_302600_NS11hip_rocprim26transform_input_iterator_tIS6_NSA_6detail15normal_iteratorINSA_10device_ptrIfEEEE22summary_stats_unary_opIfEEEPS6_S6_23summary_stats_binary_opIfEEE10hipError_tPvRmT1_T2_T3_mT4_P12ihipStream_tbEUlT_E0_NS1_11comp_targetILNS1_3genE5ELNS1_11target_archE942ELNS1_3gpuE9ELNS1_3repE0EEENS1_30default_config_static_selectorELNS0_4arch9wavefront6targetE0EEEvSR_.has_dyn_sized_stack, 0
	.set _ZN7rocprim17ROCPRIM_400000_NS6detail17trampoline_kernelINS0_14default_configENS1_22reduce_config_selectorI18summary_stats_dataIfEEEZNS1_11reduce_implILb1ES3_N6thrust23THRUST_200600_302600_NS11hip_rocprim26transform_input_iterator_tIS6_NSA_6detail15normal_iteratorINSA_10device_ptrIfEEEE22summary_stats_unary_opIfEEEPS6_S6_23summary_stats_binary_opIfEEE10hipError_tPvRmT1_T2_T3_mT4_P12ihipStream_tbEUlT_E0_NS1_11comp_targetILNS1_3genE5ELNS1_11target_archE942ELNS1_3gpuE9ELNS1_3repE0EEENS1_30default_config_static_selectorELNS0_4arch9wavefront6targetE0EEEvSR_.has_recursion, 0
	.set _ZN7rocprim17ROCPRIM_400000_NS6detail17trampoline_kernelINS0_14default_configENS1_22reduce_config_selectorI18summary_stats_dataIfEEEZNS1_11reduce_implILb1ES3_N6thrust23THRUST_200600_302600_NS11hip_rocprim26transform_input_iterator_tIS6_NSA_6detail15normal_iteratorINSA_10device_ptrIfEEEE22summary_stats_unary_opIfEEEPS6_S6_23summary_stats_binary_opIfEEE10hipError_tPvRmT1_T2_T3_mT4_P12ihipStream_tbEUlT_E0_NS1_11comp_targetILNS1_3genE5ELNS1_11target_archE942ELNS1_3gpuE9ELNS1_3repE0EEENS1_30default_config_static_selectorELNS0_4arch9wavefront6targetE0EEEvSR_.has_indirect_call, 0
	.section	.AMDGPU.csdata,"",@progbits
; Kernel info:
; codeLenInByte = 0
; TotalNumSgprs: 0
; NumVgprs: 0
; ScratchSize: 0
; MemoryBound: 0
; FloatMode: 240
; IeeeMode: 1
; LDSByteSize: 0 bytes/workgroup (compile time only)
; SGPRBlocks: 0
; VGPRBlocks: 0
; NumSGPRsForWavesPerEU: 1
; NumVGPRsForWavesPerEU: 1
; NamedBarCnt: 0
; Occupancy: 16
; WaveLimiterHint : 0
; COMPUTE_PGM_RSRC2:SCRATCH_EN: 0
; COMPUTE_PGM_RSRC2:USER_SGPR: 2
; COMPUTE_PGM_RSRC2:TRAP_HANDLER: 0
; COMPUTE_PGM_RSRC2:TGID_X_EN: 1
; COMPUTE_PGM_RSRC2:TGID_Y_EN: 0
; COMPUTE_PGM_RSRC2:TGID_Z_EN: 0
; COMPUTE_PGM_RSRC2:TIDIG_COMP_CNT: 0
	.section	.text._ZN7rocprim17ROCPRIM_400000_NS6detail17trampoline_kernelINS0_14default_configENS1_22reduce_config_selectorI18summary_stats_dataIfEEEZNS1_11reduce_implILb1ES3_N6thrust23THRUST_200600_302600_NS11hip_rocprim26transform_input_iterator_tIS6_NSA_6detail15normal_iteratorINSA_10device_ptrIfEEEE22summary_stats_unary_opIfEEEPS6_S6_23summary_stats_binary_opIfEEE10hipError_tPvRmT1_T2_T3_mT4_P12ihipStream_tbEUlT_E0_NS1_11comp_targetILNS1_3genE4ELNS1_11target_archE910ELNS1_3gpuE8ELNS1_3repE0EEENS1_30default_config_static_selectorELNS0_4arch9wavefront6targetE0EEEvSR_,"axG",@progbits,_ZN7rocprim17ROCPRIM_400000_NS6detail17trampoline_kernelINS0_14default_configENS1_22reduce_config_selectorI18summary_stats_dataIfEEEZNS1_11reduce_implILb1ES3_N6thrust23THRUST_200600_302600_NS11hip_rocprim26transform_input_iterator_tIS6_NSA_6detail15normal_iteratorINSA_10device_ptrIfEEEE22summary_stats_unary_opIfEEEPS6_S6_23summary_stats_binary_opIfEEE10hipError_tPvRmT1_T2_T3_mT4_P12ihipStream_tbEUlT_E0_NS1_11comp_targetILNS1_3genE4ELNS1_11target_archE910ELNS1_3gpuE8ELNS1_3repE0EEENS1_30default_config_static_selectorELNS0_4arch9wavefront6targetE0EEEvSR_,comdat
	.protected	_ZN7rocprim17ROCPRIM_400000_NS6detail17trampoline_kernelINS0_14default_configENS1_22reduce_config_selectorI18summary_stats_dataIfEEEZNS1_11reduce_implILb1ES3_N6thrust23THRUST_200600_302600_NS11hip_rocprim26transform_input_iterator_tIS6_NSA_6detail15normal_iteratorINSA_10device_ptrIfEEEE22summary_stats_unary_opIfEEEPS6_S6_23summary_stats_binary_opIfEEE10hipError_tPvRmT1_T2_T3_mT4_P12ihipStream_tbEUlT_E0_NS1_11comp_targetILNS1_3genE4ELNS1_11target_archE910ELNS1_3gpuE8ELNS1_3repE0EEENS1_30default_config_static_selectorELNS0_4arch9wavefront6targetE0EEEvSR_ ; -- Begin function _ZN7rocprim17ROCPRIM_400000_NS6detail17trampoline_kernelINS0_14default_configENS1_22reduce_config_selectorI18summary_stats_dataIfEEEZNS1_11reduce_implILb1ES3_N6thrust23THRUST_200600_302600_NS11hip_rocprim26transform_input_iterator_tIS6_NSA_6detail15normal_iteratorINSA_10device_ptrIfEEEE22summary_stats_unary_opIfEEEPS6_S6_23summary_stats_binary_opIfEEE10hipError_tPvRmT1_T2_T3_mT4_P12ihipStream_tbEUlT_E0_NS1_11comp_targetILNS1_3genE4ELNS1_11target_archE910ELNS1_3gpuE8ELNS1_3repE0EEENS1_30default_config_static_selectorELNS0_4arch9wavefront6targetE0EEEvSR_
	.globl	_ZN7rocprim17ROCPRIM_400000_NS6detail17trampoline_kernelINS0_14default_configENS1_22reduce_config_selectorI18summary_stats_dataIfEEEZNS1_11reduce_implILb1ES3_N6thrust23THRUST_200600_302600_NS11hip_rocprim26transform_input_iterator_tIS6_NSA_6detail15normal_iteratorINSA_10device_ptrIfEEEE22summary_stats_unary_opIfEEEPS6_S6_23summary_stats_binary_opIfEEE10hipError_tPvRmT1_T2_T3_mT4_P12ihipStream_tbEUlT_E0_NS1_11comp_targetILNS1_3genE4ELNS1_11target_archE910ELNS1_3gpuE8ELNS1_3repE0EEENS1_30default_config_static_selectorELNS0_4arch9wavefront6targetE0EEEvSR_
	.p2align	8
	.type	_ZN7rocprim17ROCPRIM_400000_NS6detail17trampoline_kernelINS0_14default_configENS1_22reduce_config_selectorI18summary_stats_dataIfEEEZNS1_11reduce_implILb1ES3_N6thrust23THRUST_200600_302600_NS11hip_rocprim26transform_input_iterator_tIS6_NSA_6detail15normal_iteratorINSA_10device_ptrIfEEEE22summary_stats_unary_opIfEEEPS6_S6_23summary_stats_binary_opIfEEE10hipError_tPvRmT1_T2_T3_mT4_P12ihipStream_tbEUlT_E0_NS1_11comp_targetILNS1_3genE4ELNS1_11target_archE910ELNS1_3gpuE8ELNS1_3repE0EEENS1_30default_config_static_selectorELNS0_4arch9wavefront6targetE0EEEvSR_,@function
_ZN7rocprim17ROCPRIM_400000_NS6detail17trampoline_kernelINS0_14default_configENS1_22reduce_config_selectorI18summary_stats_dataIfEEEZNS1_11reduce_implILb1ES3_N6thrust23THRUST_200600_302600_NS11hip_rocprim26transform_input_iterator_tIS6_NSA_6detail15normal_iteratorINSA_10device_ptrIfEEEE22summary_stats_unary_opIfEEEPS6_S6_23summary_stats_binary_opIfEEE10hipError_tPvRmT1_T2_T3_mT4_P12ihipStream_tbEUlT_E0_NS1_11comp_targetILNS1_3genE4ELNS1_11target_archE910ELNS1_3gpuE8ELNS1_3repE0EEENS1_30default_config_static_selectorELNS0_4arch9wavefront6targetE0EEEvSR_: ; @_ZN7rocprim17ROCPRIM_400000_NS6detail17trampoline_kernelINS0_14default_configENS1_22reduce_config_selectorI18summary_stats_dataIfEEEZNS1_11reduce_implILb1ES3_N6thrust23THRUST_200600_302600_NS11hip_rocprim26transform_input_iterator_tIS6_NSA_6detail15normal_iteratorINSA_10device_ptrIfEEEE22summary_stats_unary_opIfEEEPS6_S6_23summary_stats_binary_opIfEEE10hipError_tPvRmT1_T2_T3_mT4_P12ihipStream_tbEUlT_E0_NS1_11comp_targetILNS1_3genE4ELNS1_11target_archE910ELNS1_3gpuE8ELNS1_3repE0EEENS1_30default_config_static_selectorELNS0_4arch9wavefront6targetE0EEEvSR_
; %bb.0:
	.section	.rodata,"a",@progbits
	.p2align	6, 0x0
	.amdhsa_kernel _ZN7rocprim17ROCPRIM_400000_NS6detail17trampoline_kernelINS0_14default_configENS1_22reduce_config_selectorI18summary_stats_dataIfEEEZNS1_11reduce_implILb1ES3_N6thrust23THRUST_200600_302600_NS11hip_rocprim26transform_input_iterator_tIS6_NSA_6detail15normal_iteratorINSA_10device_ptrIfEEEE22summary_stats_unary_opIfEEEPS6_S6_23summary_stats_binary_opIfEEE10hipError_tPvRmT1_T2_T3_mT4_P12ihipStream_tbEUlT_E0_NS1_11comp_targetILNS1_3genE4ELNS1_11target_archE910ELNS1_3gpuE8ELNS1_3repE0EEENS1_30default_config_static_selectorELNS0_4arch9wavefront6targetE0EEEvSR_
		.amdhsa_group_segment_fixed_size 0
		.amdhsa_private_segment_fixed_size 0
		.amdhsa_kernarg_size 88
		.amdhsa_user_sgpr_count 2
		.amdhsa_user_sgpr_dispatch_ptr 0
		.amdhsa_user_sgpr_queue_ptr 0
		.amdhsa_user_sgpr_kernarg_segment_ptr 1
		.amdhsa_user_sgpr_dispatch_id 0
		.amdhsa_user_sgpr_kernarg_preload_length 0
		.amdhsa_user_sgpr_kernarg_preload_offset 0
		.amdhsa_user_sgpr_private_segment_size 0
		.amdhsa_wavefront_size32 1
		.amdhsa_uses_dynamic_stack 0
		.amdhsa_enable_private_segment 0
		.amdhsa_system_sgpr_workgroup_id_x 1
		.amdhsa_system_sgpr_workgroup_id_y 0
		.amdhsa_system_sgpr_workgroup_id_z 0
		.amdhsa_system_sgpr_workgroup_info 0
		.amdhsa_system_vgpr_workitem_id 0
		.amdhsa_next_free_vgpr 1
		.amdhsa_next_free_sgpr 1
		.amdhsa_named_barrier_count 0
		.amdhsa_reserve_vcc 0
		.amdhsa_float_round_mode_32 0
		.amdhsa_float_round_mode_16_64 0
		.amdhsa_float_denorm_mode_32 3
		.amdhsa_float_denorm_mode_16_64 3
		.amdhsa_fp16_overflow 0
		.amdhsa_memory_ordered 1
		.amdhsa_forward_progress 1
		.amdhsa_inst_pref_size 0
		.amdhsa_round_robin_scheduling 0
		.amdhsa_exception_fp_ieee_invalid_op 0
		.amdhsa_exception_fp_denorm_src 0
		.amdhsa_exception_fp_ieee_div_zero 0
		.amdhsa_exception_fp_ieee_overflow 0
		.amdhsa_exception_fp_ieee_underflow 0
		.amdhsa_exception_fp_ieee_inexact 0
		.amdhsa_exception_int_div_zero 0
	.end_amdhsa_kernel
	.section	.text._ZN7rocprim17ROCPRIM_400000_NS6detail17trampoline_kernelINS0_14default_configENS1_22reduce_config_selectorI18summary_stats_dataIfEEEZNS1_11reduce_implILb1ES3_N6thrust23THRUST_200600_302600_NS11hip_rocprim26transform_input_iterator_tIS6_NSA_6detail15normal_iteratorINSA_10device_ptrIfEEEE22summary_stats_unary_opIfEEEPS6_S6_23summary_stats_binary_opIfEEE10hipError_tPvRmT1_T2_T3_mT4_P12ihipStream_tbEUlT_E0_NS1_11comp_targetILNS1_3genE4ELNS1_11target_archE910ELNS1_3gpuE8ELNS1_3repE0EEENS1_30default_config_static_selectorELNS0_4arch9wavefront6targetE0EEEvSR_,"axG",@progbits,_ZN7rocprim17ROCPRIM_400000_NS6detail17trampoline_kernelINS0_14default_configENS1_22reduce_config_selectorI18summary_stats_dataIfEEEZNS1_11reduce_implILb1ES3_N6thrust23THRUST_200600_302600_NS11hip_rocprim26transform_input_iterator_tIS6_NSA_6detail15normal_iteratorINSA_10device_ptrIfEEEE22summary_stats_unary_opIfEEEPS6_S6_23summary_stats_binary_opIfEEE10hipError_tPvRmT1_T2_T3_mT4_P12ihipStream_tbEUlT_E0_NS1_11comp_targetILNS1_3genE4ELNS1_11target_archE910ELNS1_3gpuE8ELNS1_3repE0EEENS1_30default_config_static_selectorELNS0_4arch9wavefront6targetE0EEEvSR_,comdat
.Lfunc_end20:
	.size	_ZN7rocprim17ROCPRIM_400000_NS6detail17trampoline_kernelINS0_14default_configENS1_22reduce_config_selectorI18summary_stats_dataIfEEEZNS1_11reduce_implILb1ES3_N6thrust23THRUST_200600_302600_NS11hip_rocprim26transform_input_iterator_tIS6_NSA_6detail15normal_iteratorINSA_10device_ptrIfEEEE22summary_stats_unary_opIfEEEPS6_S6_23summary_stats_binary_opIfEEE10hipError_tPvRmT1_T2_T3_mT4_P12ihipStream_tbEUlT_E0_NS1_11comp_targetILNS1_3genE4ELNS1_11target_archE910ELNS1_3gpuE8ELNS1_3repE0EEENS1_30default_config_static_selectorELNS0_4arch9wavefront6targetE0EEEvSR_, .Lfunc_end20-_ZN7rocprim17ROCPRIM_400000_NS6detail17trampoline_kernelINS0_14default_configENS1_22reduce_config_selectorI18summary_stats_dataIfEEEZNS1_11reduce_implILb1ES3_N6thrust23THRUST_200600_302600_NS11hip_rocprim26transform_input_iterator_tIS6_NSA_6detail15normal_iteratorINSA_10device_ptrIfEEEE22summary_stats_unary_opIfEEEPS6_S6_23summary_stats_binary_opIfEEE10hipError_tPvRmT1_T2_T3_mT4_P12ihipStream_tbEUlT_E0_NS1_11comp_targetILNS1_3genE4ELNS1_11target_archE910ELNS1_3gpuE8ELNS1_3repE0EEENS1_30default_config_static_selectorELNS0_4arch9wavefront6targetE0EEEvSR_
                                        ; -- End function
	.set _ZN7rocprim17ROCPRIM_400000_NS6detail17trampoline_kernelINS0_14default_configENS1_22reduce_config_selectorI18summary_stats_dataIfEEEZNS1_11reduce_implILb1ES3_N6thrust23THRUST_200600_302600_NS11hip_rocprim26transform_input_iterator_tIS6_NSA_6detail15normal_iteratorINSA_10device_ptrIfEEEE22summary_stats_unary_opIfEEEPS6_S6_23summary_stats_binary_opIfEEE10hipError_tPvRmT1_T2_T3_mT4_P12ihipStream_tbEUlT_E0_NS1_11comp_targetILNS1_3genE4ELNS1_11target_archE910ELNS1_3gpuE8ELNS1_3repE0EEENS1_30default_config_static_selectorELNS0_4arch9wavefront6targetE0EEEvSR_.num_vgpr, 0
	.set _ZN7rocprim17ROCPRIM_400000_NS6detail17trampoline_kernelINS0_14default_configENS1_22reduce_config_selectorI18summary_stats_dataIfEEEZNS1_11reduce_implILb1ES3_N6thrust23THRUST_200600_302600_NS11hip_rocprim26transform_input_iterator_tIS6_NSA_6detail15normal_iteratorINSA_10device_ptrIfEEEE22summary_stats_unary_opIfEEEPS6_S6_23summary_stats_binary_opIfEEE10hipError_tPvRmT1_T2_T3_mT4_P12ihipStream_tbEUlT_E0_NS1_11comp_targetILNS1_3genE4ELNS1_11target_archE910ELNS1_3gpuE8ELNS1_3repE0EEENS1_30default_config_static_selectorELNS0_4arch9wavefront6targetE0EEEvSR_.num_agpr, 0
	.set _ZN7rocprim17ROCPRIM_400000_NS6detail17trampoline_kernelINS0_14default_configENS1_22reduce_config_selectorI18summary_stats_dataIfEEEZNS1_11reduce_implILb1ES3_N6thrust23THRUST_200600_302600_NS11hip_rocprim26transform_input_iterator_tIS6_NSA_6detail15normal_iteratorINSA_10device_ptrIfEEEE22summary_stats_unary_opIfEEEPS6_S6_23summary_stats_binary_opIfEEE10hipError_tPvRmT1_T2_T3_mT4_P12ihipStream_tbEUlT_E0_NS1_11comp_targetILNS1_3genE4ELNS1_11target_archE910ELNS1_3gpuE8ELNS1_3repE0EEENS1_30default_config_static_selectorELNS0_4arch9wavefront6targetE0EEEvSR_.numbered_sgpr, 0
	.set _ZN7rocprim17ROCPRIM_400000_NS6detail17trampoline_kernelINS0_14default_configENS1_22reduce_config_selectorI18summary_stats_dataIfEEEZNS1_11reduce_implILb1ES3_N6thrust23THRUST_200600_302600_NS11hip_rocprim26transform_input_iterator_tIS6_NSA_6detail15normal_iteratorINSA_10device_ptrIfEEEE22summary_stats_unary_opIfEEEPS6_S6_23summary_stats_binary_opIfEEE10hipError_tPvRmT1_T2_T3_mT4_P12ihipStream_tbEUlT_E0_NS1_11comp_targetILNS1_3genE4ELNS1_11target_archE910ELNS1_3gpuE8ELNS1_3repE0EEENS1_30default_config_static_selectorELNS0_4arch9wavefront6targetE0EEEvSR_.num_named_barrier, 0
	.set _ZN7rocprim17ROCPRIM_400000_NS6detail17trampoline_kernelINS0_14default_configENS1_22reduce_config_selectorI18summary_stats_dataIfEEEZNS1_11reduce_implILb1ES3_N6thrust23THRUST_200600_302600_NS11hip_rocprim26transform_input_iterator_tIS6_NSA_6detail15normal_iteratorINSA_10device_ptrIfEEEE22summary_stats_unary_opIfEEEPS6_S6_23summary_stats_binary_opIfEEE10hipError_tPvRmT1_T2_T3_mT4_P12ihipStream_tbEUlT_E0_NS1_11comp_targetILNS1_3genE4ELNS1_11target_archE910ELNS1_3gpuE8ELNS1_3repE0EEENS1_30default_config_static_selectorELNS0_4arch9wavefront6targetE0EEEvSR_.private_seg_size, 0
	.set _ZN7rocprim17ROCPRIM_400000_NS6detail17trampoline_kernelINS0_14default_configENS1_22reduce_config_selectorI18summary_stats_dataIfEEEZNS1_11reduce_implILb1ES3_N6thrust23THRUST_200600_302600_NS11hip_rocprim26transform_input_iterator_tIS6_NSA_6detail15normal_iteratorINSA_10device_ptrIfEEEE22summary_stats_unary_opIfEEEPS6_S6_23summary_stats_binary_opIfEEE10hipError_tPvRmT1_T2_T3_mT4_P12ihipStream_tbEUlT_E0_NS1_11comp_targetILNS1_3genE4ELNS1_11target_archE910ELNS1_3gpuE8ELNS1_3repE0EEENS1_30default_config_static_selectorELNS0_4arch9wavefront6targetE0EEEvSR_.uses_vcc, 0
	.set _ZN7rocprim17ROCPRIM_400000_NS6detail17trampoline_kernelINS0_14default_configENS1_22reduce_config_selectorI18summary_stats_dataIfEEEZNS1_11reduce_implILb1ES3_N6thrust23THRUST_200600_302600_NS11hip_rocprim26transform_input_iterator_tIS6_NSA_6detail15normal_iteratorINSA_10device_ptrIfEEEE22summary_stats_unary_opIfEEEPS6_S6_23summary_stats_binary_opIfEEE10hipError_tPvRmT1_T2_T3_mT4_P12ihipStream_tbEUlT_E0_NS1_11comp_targetILNS1_3genE4ELNS1_11target_archE910ELNS1_3gpuE8ELNS1_3repE0EEENS1_30default_config_static_selectorELNS0_4arch9wavefront6targetE0EEEvSR_.uses_flat_scratch, 0
	.set _ZN7rocprim17ROCPRIM_400000_NS6detail17trampoline_kernelINS0_14default_configENS1_22reduce_config_selectorI18summary_stats_dataIfEEEZNS1_11reduce_implILb1ES3_N6thrust23THRUST_200600_302600_NS11hip_rocprim26transform_input_iterator_tIS6_NSA_6detail15normal_iteratorINSA_10device_ptrIfEEEE22summary_stats_unary_opIfEEEPS6_S6_23summary_stats_binary_opIfEEE10hipError_tPvRmT1_T2_T3_mT4_P12ihipStream_tbEUlT_E0_NS1_11comp_targetILNS1_3genE4ELNS1_11target_archE910ELNS1_3gpuE8ELNS1_3repE0EEENS1_30default_config_static_selectorELNS0_4arch9wavefront6targetE0EEEvSR_.has_dyn_sized_stack, 0
	.set _ZN7rocprim17ROCPRIM_400000_NS6detail17trampoline_kernelINS0_14default_configENS1_22reduce_config_selectorI18summary_stats_dataIfEEEZNS1_11reduce_implILb1ES3_N6thrust23THRUST_200600_302600_NS11hip_rocprim26transform_input_iterator_tIS6_NSA_6detail15normal_iteratorINSA_10device_ptrIfEEEE22summary_stats_unary_opIfEEEPS6_S6_23summary_stats_binary_opIfEEE10hipError_tPvRmT1_T2_T3_mT4_P12ihipStream_tbEUlT_E0_NS1_11comp_targetILNS1_3genE4ELNS1_11target_archE910ELNS1_3gpuE8ELNS1_3repE0EEENS1_30default_config_static_selectorELNS0_4arch9wavefront6targetE0EEEvSR_.has_recursion, 0
	.set _ZN7rocprim17ROCPRIM_400000_NS6detail17trampoline_kernelINS0_14default_configENS1_22reduce_config_selectorI18summary_stats_dataIfEEEZNS1_11reduce_implILb1ES3_N6thrust23THRUST_200600_302600_NS11hip_rocprim26transform_input_iterator_tIS6_NSA_6detail15normal_iteratorINSA_10device_ptrIfEEEE22summary_stats_unary_opIfEEEPS6_S6_23summary_stats_binary_opIfEEE10hipError_tPvRmT1_T2_T3_mT4_P12ihipStream_tbEUlT_E0_NS1_11comp_targetILNS1_3genE4ELNS1_11target_archE910ELNS1_3gpuE8ELNS1_3repE0EEENS1_30default_config_static_selectorELNS0_4arch9wavefront6targetE0EEEvSR_.has_indirect_call, 0
	.section	.AMDGPU.csdata,"",@progbits
; Kernel info:
; codeLenInByte = 0
; TotalNumSgprs: 0
; NumVgprs: 0
; ScratchSize: 0
; MemoryBound: 0
; FloatMode: 240
; IeeeMode: 1
; LDSByteSize: 0 bytes/workgroup (compile time only)
; SGPRBlocks: 0
; VGPRBlocks: 0
; NumSGPRsForWavesPerEU: 1
; NumVGPRsForWavesPerEU: 1
; NamedBarCnt: 0
; Occupancy: 16
; WaveLimiterHint : 0
; COMPUTE_PGM_RSRC2:SCRATCH_EN: 0
; COMPUTE_PGM_RSRC2:USER_SGPR: 2
; COMPUTE_PGM_RSRC2:TRAP_HANDLER: 0
; COMPUTE_PGM_RSRC2:TGID_X_EN: 1
; COMPUTE_PGM_RSRC2:TGID_Y_EN: 0
; COMPUTE_PGM_RSRC2:TGID_Z_EN: 0
; COMPUTE_PGM_RSRC2:TIDIG_COMP_CNT: 0
	.section	.text._ZN7rocprim17ROCPRIM_400000_NS6detail17trampoline_kernelINS0_14default_configENS1_22reduce_config_selectorI18summary_stats_dataIfEEEZNS1_11reduce_implILb1ES3_N6thrust23THRUST_200600_302600_NS11hip_rocprim26transform_input_iterator_tIS6_NSA_6detail15normal_iteratorINSA_10device_ptrIfEEEE22summary_stats_unary_opIfEEEPS6_S6_23summary_stats_binary_opIfEEE10hipError_tPvRmT1_T2_T3_mT4_P12ihipStream_tbEUlT_E0_NS1_11comp_targetILNS1_3genE3ELNS1_11target_archE908ELNS1_3gpuE7ELNS1_3repE0EEENS1_30default_config_static_selectorELNS0_4arch9wavefront6targetE0EEEvSR_,"axG",@progbits,_ZN7rocprim17ROCPRIM_400000_NS6detail17trampoline_kernelINS0_14default_configENS1_22reduce_config_selectorI18summary_stats_dataIfEEEZNS1_11reduce_implILb1ES3_N6thrust23THRUST_200600_302600_NS11hip_rocprim26transform_input_iterator_tIS6_NSA_6detail15normal_iteratorINSA_10device_ptrIfEEEE22summary_stats_unary_opIfEEEPS6_S6_23summary_stats_binary_opIfEEE10hipError_tPvRmT1_T2_T3_mT4_P12ihipStream_tbEUlT_E0_NS1_11comp_targetILNS1_3genE3ELNS1_11target_archE908ELNS1_3gpuE7ELNS1_3repE0EEENS1_30default_config_static_selectorELNS0_4arch9wavefront6targetE0EEEvSR_,comdat
	.protected	_ZN7rocprim17ROCPRIM_400000_NS6detail17trampoline_kernelINS0_14default_configENS1_22reduce_config_selectorI18summary_stats_dataIfEEEZNS1_11reduce_implILb1ES3_N6thrust23THRUST_200600_302600_NS11hip_rocprim26transform_input_iterator_tIS6_NSA_6detail15normal_iteratorINSA_10device_ptrIfEEEE22summary_stats_unary_opIfEEEPS6_S6_23summary_stats_binary_opIfEEE10hipError_tPvRmT1_T2_T3_mT4_P12ihipStream_tbEUlT_E0_NS1_11comp_targetILNS1_3genE3ELNS1_11target_archE908ELNS1_3gpuE7ELNS1_3repE0EEENS1_30default_config_static_selectorELNS0_4arch9wavefront6targetE0EEEvSR_ ; -- Begin function _ZN7rocprim17ROCPRIM_400000_NS6detail17trampoline_kernelINS0_14default_configENS1_22reduce_config_selectorI18summary_stats_dataIfEEEZNS1_11reduce_implILb1ES3_N6thrust23THRUST_200600_302600_NS11hip_rocprim26transform_input_iterator_tIS6_NSA_6detail15normal_iteratorINSA_10device_ptrIfEEEE22summary_stats_unary_opIfEEEPS6_S6_23summary_stats_binary_opIfEEE10hipError_tPvRmT1_T2_T3_mT4_P12ihipStream_tbEUlT_E0_NS1_11comp_targetILNS1_3genE3ELNS1_11target_archE908ELNS1_3gpuE7ELNS1_3repE0EEENS1_30default_config_static_selectorELNS0_4arch9wavefront6targetE0EEEvSR_
	.globl	_ZN7rocprim17ROCPRIM_400000_NS6detail17trampoline_kernelINS0_14default_configENS1_22reduce_config_selectorI18summary_stats_dataIfEEEZNS1_11reduce_implILb1ES3_N6thrust23THRUST_200600_302600_NS11hip_rocprim26transform_input_iterator_tIS6_NSA_6detail15normal_iteratorINSA_10device_ptrIfEEEE22summary_stats_unary_opIfEEEPS6_S6_23summary_stats_binary_opIfEEE10hipError_tPvRmT1_T2_T3_mT4_P12ihipStream_tbEUlT_E0_NS1_11comp_targetILNS1_3genE3ELNS1_11target_archE908ELNS1_3gpuE7ELNS1_3repE0EEENS1_30default_config_static_selectorELNS0_4arch9wavefront6targetE0EEEvSR_
	.p2align	8
	.type	_ZN7rocprim17ROCPRIM_400000_NS6detail17trampoline_kernelINS0_14default_configENS1_22reduce_config_selectorI18summary_stats_dataIfEEEZNS1_11reduce_implILb1ES3_N6thrust23THRUST_200600_302600_NS11hip_rocprim26transform_input_iterator_tIS6_NSA_6detail15normal_iteratorINSA_10device_ptrIfEEEE22summary_stats_unary_opIfEEEPS6_S6_23summary_stats_binary_opIfEEE10hipError_tPvRmT1_T2_T3_mT4_P12ihipStream_tbEUlT_E0_NS1_11comp_targetILNS1_3genE3ELNS1_11target_archE908ELNS1_3gpuE7ELNS1_3repE0EEENS1_30default_config_static_selectorELNS0_4arch9wavefront6targetE0EEEvSR_,@function
_ZN7rocprim17ROCPRIM_400000_NS6detail17trampoline_kernelINS0_14default_configENS1_22reduce_config_selectorI18summary_stats_dataIfEEEZNS1_11reduce_implILb1ES3_N6thrust23THRUST_200600_302600_NS11hip_rocprim26transform_input_iterator_tIS6_NSA_6detail15normal_iteratorINSA_10device_ptrIfEEEE22summary_stats_unary_opIfEEEPS6_S6_23summary_stats_binary_opIfEEE10hipError_tPvRmT1_T2_T3_mT4_P12ihipStream_tbEUlT_E0_NS1_11comp_targetILNS1_3genE3ELNS1_11target_archE908ELNS1_3gpuE7ELNS1_3repE0EEENS1_30default_config_static_selectorELNS0_4arch9wavefront6targetE0EEEvSR_: ; @_ZN7rocprim17ROCPRIM_400000_NS6detail17trampoline_kernelINS0_14default_configENS1_22reduce_config_selectorI18summary_stats_dataIfEEEZNS1_11reduce_implILb1ES3_N6thrust23THRUST_200600_302600_NS11hip_rocprim26transform_input_iterator_tIS6_NSA_6detail15normal_iteratorINSA_10device_ptrIfEEEE22summary_stats_unary_opIfEEEPS6_S6_23summary_stats_binary_opIfEEE10hipError_tPvRmT1_T2_T3_mT4_P12ihipStream_tbEUlT_E0_NS1_11comp_targetILNS1_3genE3ELNS1_11target_archE908ELNS1_3gpuE7ELNS1_3repE0EEENS1_30default_config_static_selectorELNS0_4arch9wavefront6targetE0EEEvSR_
; %bb.0:
	.section	.rodata,"a",@progbits
	.p2align	6, 0x0
	.amdhsa_kernel _ZN7rocprim17ROCPRIM_400000_NS6detail17trampoline_kernelINS0_14default_configENS1_22reduce_config_selectorI18summary_stats_dataIfEEEZNS1_11reduce_implILb1ES3_N6thrust23THRUST_200600_302600_NS11hip_rocprim26transform_input_iterator_tIS6_NSA_6detail15normal_iteratorINSA_10device_ptrIfEEEE22summary_stats_unary_opIfEEEPS6_S6_23summary_stats_binary_opIfEEE10hipError_tPvRmT1_T2_T3_mT4_P12ihipStream_tbEUlT_E0_NS1_11comp_targetILNS1_3genE3ELNS1_11target_archE908ELNS1_3gpuE7ELNS1_3repE0EEENS1_30default_config_static_selectorELNS0_4arch9wavefront6targetE0EEEvSR_
		.amdhsa_group_segment_fixed_size 0
		.amdhsa_private_segment_fixed_size 0
		.amdhsa_kernarg_size 88
		.amdhsa_user_sgpr_count 2
		.amdhsa_user_sgpr_dispatch_ptr 0
		.amdhsa_user_sgpr_queue_ptr 0
		.amdhsa_user_sgpr_kernarg_segment_ptr 1
		.amdhsa_user_sgpr_dispatch_id 0
		.amdhsa_user_sgpr_kernarg_preload_length 0
		.amdhsa_user_sgpr_kernarg_preload_offset 0
		.amdhsa_user_sgpr_private_segment_size 0
		.amdhsa_wavefront_size32 1
		.amdhsa_uses_dynamic_stack 0
		.amdhsa_enable_private_segment 0
		.amdhsa_system_sgpr_workgroup_id_x 1
		.amdhsa_system_sgpr_workgroup_id_y 0
		.amdhsa_system_sgpr_workgroup_id_z 0
		.amdhsa_system_sgpr_workgroup_info 0
		.amdhsa_system_vgpr_workitem_id 0
		.amdhsa_next_free_vgpr 1
		.amdhsa_next_free_sgpr 1
		.amdhsa_named_barrier_count 0
		.amdhsa_reserve_vcc 0
		.amdhsa_float_round_mode_32 0
		.amdhsa_float_round_mode_16_64 0
		.amdhsa_float_denorm_mode_32 3
		.amdhsa_float_denorm_mode_16_64 3
		.amdhsa_fp16_overflow 0
		.amdhsa_memory_ordered 1
		.amdhsa_forward_progress 1
		.amdhsa_inst_pref_size 0
		.amdhsa_round_robin_scheduling 0
		.amdhsa_exception_fp_ieee_invalid_op 0
		.amdhsa_exception_fp_denorm_src 0
		.amdhsa_exception_fp_ieee_div_zero 0
		.amdhsa_exception_fp_ieee_overflow 0
		.amdhsa_exception_fp_ieee_underflow 0
		.amdhsa_exception_fp_ieee_inexact 0
		.amdhsa_exception_int_div_zero 0
	.end_amdhsa_kernel
	.section	.text._ZN7rocprim17ROCPRIM_400000_NS6detail17trampoline_kernelINS0_14default_configENS1_22reduce_config_selectorI18summary_stats_dataIfEEEZNS1_11reduce_implILb1ES3_N6thrust23THRUST_200600_302600_NS11hip_rocprim26transform_input_iterator_tIS6_NSA_6detail15normal_iteratorINSA_10device_ptrIfEEEE22summary_stats_unary_opIfEEEPS6_S6_23summary_stats_binary_opIfEEE10hipError_tPvRmT1_T2_T3_mT4_P12ihipStream_tbEUlT_E0_NS1_11comp_targetILNS1_3genE3ELNS1_11target_archE908ELNS1_3gpuE7ELNS1_3repE0EEENS1_30default_config_static_selectorELNS0_4arch9wavefront6targetE0EEEvSR_,"axG",@progbits,_ZN7rocprim17ROCPRIM_400000_NS6detail17trampoline_kernelINS0_14default_configENS1_22reduce_config_selectorI18summary_stats_dataIfEEEZNS1_11reduce_implILb1ES3_N6thrust23THRUST_200600_302600_NS11hip_rocprim26transform_input_iterator_tIS6_NSA_6detail15normal_iteratorINSA_10device_ptrIfEEEE22summary_stats_unary_opIfEEEPS6_S6_23summary_stats_binary_opIfEEE10hipError_tPvRmT1_T2_T3_mT4_P12ihipStream_tbEUlT_E0_NS1_11comp_targetILNS1_3genE3ELNS1_11target_archE908ELNS1_3gpuE7ELNS1_3repE0EEENS1_30default_config_static_selectorELNS0_4arch9wavefront6targetE0EEEvSR_,comdat
.Lfunc_end21:
	.size	_ZN7rocprim17ROCPRIM_400000_NS6detail17trampoline_kernelINS0_14default_configENS1_22reduce_config_selectorI18summary_stats_dataIfEEEZNS1_11reduce_implILb1ES3_N6thrust23THRUST_200600_302600_NS11hip_rocprim26transform_input_iterator_tIS6_NSA_6detail15normal_iteratorINSA_10device_ptrIfEEEE22summary_stats_unary_opIfEEEPS6_S6_23summary_stats_binary_opIfEEE10hipError_tPvRmT1_T2_T3_mT4_P12ihipStream_tbEUlT_E0_NS1_11comp_targetILNS1_3genE3ELNS1_11target_archE908ELNS1_3gpuE7ELNS1_3repE0EEENS1_30default_config_static_selectorELNS0_4arch9wavefront6targetE0EEEvSR_, .Lfunc_end21-_ZN7rocprim17ROCPRIM_400000_NS6detail17trampoline_kernelINS0_14default_configENS1_22reduce_config_selectorI18summary_stats_dataIfEEEZNS1_11reduce_implILb1ES3_N6thrust23THRUST_200600_302600_NS11hip_rocprim26transform_input_iterator_tIS6_NSA_6detail15normal_iteratorINSA_10device_ptrIfEEEE22summary_stats_unary_opIfEEEPS6_S6_23summary_stats_binary_opIfEEE10hipError_tPvRmT1_T2_T3_mT4_P12ihipStream_tbEUlT_E0_NS1_11comp_targetILNS1_3genE3ELNS1_11target_archE908ELNS1_3gpuE7ELNS1_3repE0EEENS1_30default_config_static_selectorELNS0_4arch9wavefront6targetE0EEEvSR_
                                        ; -- End function
	.set _ZN7rocprim17ROCPRIM_400000_NS6detail17trampoline_kernelINS0_14default_configENS1_22reduce_config_selectorI18summary_stats_dataIfEEEZNS1_11reduce_implILb1ES3_N6thrust23THRUST_200600_302600_NS11hip_rocprim26transform_input_iterator_tIS6_NSA_6detail15normal_iteratorINSA_10device_ptrIfEEEE22summary_stats_unary_opIfEEEPS6_S6_23summary_stats_binary_opIfEEE10hipError_tPvRmT1_T2_T3_mT4_P12ihipStream_tbEUlT_E0_NS1_11comp_targetILNS1_3genE3ELNS1_11target_archE908ELNS1_3gpuE7ELNS1_3repE0EEENS1_30default_config_static_selectorELNS0_4arch9wavefront6targetE0EEEvSR_.num_vgpr, 0
	.set _ZN7rocprim17ROCPRIM_400000_NS6detail17trampoline_kernelINS0_14default_configENS1_22reduce_config_selectorI18summary_stats_dataIfEEEZNS1_11reduce_implILb1ES3_N6thrust23THRUST_200600_302600_NS11hip_rocprim26transform_input_iterator_tIS6_NSA_6detail15normal_iteratorINSA_10device_ptrIfEEEE22summary_stats_unary_opIfEEEPS6_S6_23summary_stats_binary_opIfEEE10hipError_tPvRmT1_T2_T3_mT4_P12ihipStream_tbEUlT_E0_NS1_11comp_targetILNS1_3genE3ELNS1_11target_archE908ELNS1_3gpuE7ELNS1_3repE0EEENS1_30default_config_static_selectorELNS0_4arch9wavefront6targetE0EEEvSR_.num_agpr, 0
	.set _ZN7rocprim17ROCPRIM_400000_NS6detail17trampoline_kernelINS0_14default_configENS1_22reduce_config_selectorI18summary_stats_dataIfEEEZNS1_11reduce_implILb1ES3_N6thrust23THRUST_200600_302600_NS11hip_rocprim26transform_input_iterator_tIS6_NSA_6detail15normal_iteratorINSA_10device_ptrIfEEEE22summary_stats_unary_opIfEEEPS6_S6_23summary_stats_binary_opIfEEE10hipError_tPvRmT1_T2_T3_mT4_P12ihipStream_tbEUlT_E0_NS1_11comp_targetILNS1_3genE3ELNS1_11target_archE908ELNS1_3gpuE7ELNS1_3repE0EEENS1_30default_config_static_selectorELNS0_4arch9wavefront6targetE0EEEvSR_.numbered_sgpr, 0
	.set _ZN7rocprim17ROCPRIM_400000_NS6detail17trampoline_kernelINS0_14default_configENS1_22reduce_config_selectorI18summary_stats_dataIfEEEZNS1_11reduce_implILb1ES3_N6thrust23THRUST_200600_302600_NS11hip_rocprim26transform_input_iterator_tIS6_NSA_6detail15normal_iteratorINSA_10device_ptrIfEEEE22summary_stats_unary_opIfEEEPS6_S6_23summary_stats_binary_opIfEEE10hipError_tPvRmT1_T2_T3_mT4_P12ihipStream_tbEUlT_E0_NS1_11comp_targetILNS1_3genE3ELNS1_11target_archE908ELNS1_3gpuE7ELNS1_3repE0EEENS1_30default_config_static_selectorELNS0_4arch9wavefront6targetE0EEEvSR_.num_named_barrier, 0
	.set _ZN7rocprim17ROCPRIM_400000_NS6detail17trampoline_kernelINS0_14default_configENS1_22reduce_config_selectorI18summary_stats_dataIfEEEZNS1_11reduce_implILb1ES3_N6thrust23THRUST_200600_302600_NS11hip_rocprim26transform_input_iterator_tIS6_NSA_6detail15normal_iteratorINSA_10device_ptrIfEEEE22summary_stats_unary_opIfEEEPS6_S6_23summary_stats_binary_opIfEEE10hipError_tPvRmT1_T2_T3_mT4_P12ihipStream_tbEUlT_E0_NS1_11comp_targetILNS1_3genE3ELNS1_11target_archE908ELNS1_3gpuE7ELNS1_3repE0EEENS1_30default_config_static_selectorELNS0_4arch9wavefront6targetE0EEEvSR_.private_seg_size, 0
	.set _ZN7rocprim17ROCPRIM_400000_NS6detail17trampoline_kernelINS0_14default_configENS1_22reduce_config_selectorI18summary_stats_dataIfEEEZNS1_11reduce_implILb1ES3_N6thrust23THRUST_200600_302600_NS11hip_rocprim26transform_input_iterator_tIS6_NSA_6detail15normal_iteratorINSA_10device_ptrIfEEEE22summary_stats_unary_opIfEEEPS6_S6_23summary_stats_binary_opIfEEE10hipError_tPvRmT1_T2_T3_mT4_P12ihipStream_tbEUlT_E0_NS1_11comp_targetILNS1_3genE3ELNS1_11target_archE908ELNS1_3gpuE7ELNS1_3repE0EEENS1_30default_config_static_selectorELNS0_4arch9wavefront6targetE0EEEvSR_.uses_vcc, 0
	.set _ZN7rocprim17ROCPRIM_400000_NS6detail17trampoline_kernelINS0_14default_configENS1_22reduce_config_selectorI18summary_stats_dataIfEEEZNS1_11reduce_implILb1ES3_N6thrust23THRUST_200600_302600_NS11hip_rocprim26transform_input_iterator_tIS6_NSA_6detail15normal_iteratorINSA_10device_ptrIfEEEE22summary_stats_unary_opIfEEEPS6_S6_23summary_stats_binary_opIfEEE10hipError_tPvRmT1_T2_T3_mT4_P12ihipStream_tbEUlT_E0_NS1_11comp_targetILNS1_3genE3ELNS1_11target_archE908ELNS1_3gpuE7ELNS1_3repE0EEENS1_30default_config_static_selectorELNS0_4arch9wavefront6targetE0EEEvSR_.uses_flat_scratch, 0
	.set _ZN7rocprim17ROCPRIM_400000_NS6detail17trampoline_kernelINS0_14default_configENS1_22reduce_config_selectorI18summary_stats_dataIfEEEZNS1_11reduce_implILb1ES3_N6thrust23THRUST_200600_302600_NS11hip_rocprim26transform_input_iterator_tIS6_NSA_6detail15normal_iteratorINSA_10device_ptrIfEEEE22summary_stats_unary_opIfEEEPS6_S6_23summary_stats_binary_opIfEEE10hipError_tPvRmT1_T2_T3_mT4_P12ihipStream_tbEUlT_E0_NS1_11comp_targetILNS1_3genE3ELNS1_11target_archE908ELNS1_3gpuE7ELNS1_3repE0EEENS1_30default_config_static_selectorELNS0_4arch9wavefront6targetE0EEEvSR_.has_dyn_sized_stack, 0
	.set _ZN7rocprim17ROCPRIM_400000_NS6detail17trampoline_kernelINS0_14default_configENS1_22reduce_config_selectorI18summary_stats_dataIfEEEZNS1_11reduce_implILb1ES3_N6thrust23THRUST_200600_302600_NS11hip_rocprim26transform_input_iterator_tIS6_NSA_6detail15normal_iteratorINSA_10device_ptrIfEEEE22summary_stats_unary_opIfEEEPS6_S6_23summary_stats_binary_opIfEEE10hipError_tPvRmT1_T2_T3_mT4_P12ihipStream_tbEUlT_E0_NS1_11comp_targetILNS1_3genE3ELNS1_11target_archE908ELNS1_3gpuE7ELNS1_3repE0EEENS1_30default_config_static_selectorELNS0_4arch9wavefront6targetE0EEEvSR_.has_recursion, 0
	.set _ZN7rocprim17ROCPRIM_400000_NS6detail17trampoline_kernelINS0_14default_configENS1_22reduce_config_selectorI18summary_stats_dataIfEEEZNS1_11reduce_implILb1ES3_N6thrust23THRUST_200600_302600_NS11hip_rocprim26transform_input_iterator_tIS6_NSA_6detail15normal_iteratorINSA_10device_ptrIfEEEE22summary_stats_unary_opIfEEEPS6_S6_23summary_stats_binary_opIfEEE10hipError_tPvRmT1_T2_T3_mT4_P12ihipStream_tbEUlT_E0_NS1_11comp_targetILNS1_3genE3ELNS1_11target_archE908ELNS1_3gpuE7ELNS1_3repE0EEENS1_30default_config_static_selectorELNS0_4arch9wavefront6targetE0EEEvSR_.has_indirect_call, 0
	.section	.AMDGPU.csdata,"",@progbits
; Kernel info:
; codeLenInByte = 0
; TotalNumSgprs: 0
; NumVgprs: 0
; ScratchSize: 0
; MemoryBound: 0
; FloatMode: 240
; IeeeMode: 1
; LDSByteSize: 0 bytes/workgroup (compile time only)
; SGPRBlocks: 0
; VGPRBlocks: 0
; NumSGPRsForWavesPerEU: 1
; NumVGPRsForWavesPerEU: 1
; NamedBarCnt: 0
; Occupancy: 16
; WaveLimiterHint : 0
; COMPUTE_PGM_RSRC2:SCRATCH_EN: 0
; COMPUTE_PGM_RSRC2:USER_SGPR: 2
; COMPUTE_PGM_RSRC2:TRAP_HANDLER: 0
; COMPUTE_PGM_RSRC2:TGID_X_EN: 1
; COMPUTE_PGM_RSRC2:TGID_Y_EN: 0
; COMPUTE_PGM_RSRC2:TGID_Z_EN: 0
; COMPUTE_PGM_RSRC2:TIDIG_COMP_CNT: 0
	.section	.text._ZN7rocprim17ROCPRIM_400000_NS6detail17trampoline_kernelINS0_14default_configENS1_22reduce_config_selectorI18summary_stats_dataIfEEEZNS1_11reduce_implILb1ES3_N6thrust23THRUST_200600_302600_NS11hip_rocprim26transform_input_iterator_tIS6_NSA_6detail15normal_iteratorINSA_10device_ptrIfEEEE22summary_stats_unary_opIfEEEPS6_S6_23summary_stats_binary_opIfEEE10hipError_tPvRmT1_T2_T3_mT4_P12ihipStream_tbEUlT_E0_NS1_11comp_targetILNS1_3genE2ELNS1_11target_archE906ELNS1_3gpuE6ELNS1_3repE0EEENS1_30default_config_static_selectorELNS0_4arch9wavefront6targetE0EEEvSR_,"axG",@progbits,_ZN7rocprim17ROCPRIM_400000_NS6detail17trampoline_kernelINS0_14default_configENS1_22reduce_config_selectorI18summary_stats_dataIfEEEZNS1_11reduce_implILb1ES3_N6thrust23THRUST_200600_302600_NS11hip_rocprim26transform_input_iterator_tIS6_NSA_6detail15normal_iteratorINSA_10device_ptrIfEEEE22summary_stats_unary_opIfEEEPS6_S6_23summary_stats_binary_opIfEEE10hipError_tPvRmT1_T2_T3_mT4_P12ihipStream_tbEUlT_E0_NS1_11comp_targetILNS1_3genE2ELNS1_11target_archE906ELNS1_3gpuE6ELNS1_3repE0EEENS1_30default_config_static_selectorELNS0_4arch9wavefront6targetE0EEEvSR_,comdat
	.protected	_ZN7rocprim17ROCPRIM_400000_NS6detail17trampoline_kernelINS0_14default_configENS1_22reduce_config_selectorI18summary_stats_dataIfEEEZNS1_11reduce_implILb1ES3_N6thrust23THRUST_200600_302600_NS11hip_rocprim26transform_input_iterator_tIS6_NSA_6detail15normal_iteratorINSA_10device_ptrIfEEEE22summary_stats_unary_opIfEEEPS6_S6_23summary_stats_binary_opIfEEE10hipError_tPvRmT1_T2_T3_mT4_P12ihipStream_tbEUlT_E0_NS1_11comp_targetILNS1_3genE2ELNS1_11target_archE906ELNS1_3gpuE6ELNS1_3repE0EEENS1_30default_config_static_selectorELNS0_4arch9wavefront6targetE0EEEvSR_ ; -- Begin function _ZN7rocprim17ROCPRIM_400000_NS6detail17trampoline_kernelINS0_14default_configENS1_22reduce_config_selectorI18summary_stats_dataIfEEEZNS1_11reduce_implILb1ES3_N6thrust23THRUST_200600_302600_NS11hip_rocprim26transform_input_iterator_tIS6_NSA_6detail15normal_iteratorINSA_10device_ptrIfEEEE22summary_stats_unary_opIfEEEPS6_S6_23summary_stats_binary_opIfEEE10hipError_tPvRmT1_T2_T3_mT4_P12ihipStream_tbEUlT_E0_NS1_11comp_targetILNS1_3genE2ELNS1_11target_archE906ELNS1_3gpuE6ELNS1_3repE0EEENS1_30default_config_static_selectorELNS0_4arch9wavefront6targetE0EEEvSR_
	.globl	_ZN7rocprim17ROCPRIM_400000_NS6detail17trampoline_kernelINS0_14default_configENS1_22reduce_config_selectorI18summary_stats_dataIfEEEZNS1_11reduce_implILb1ES3_N6thrust23THRUST_200600_302600_NS11hip_rocprim26transform_input_iterator_tIS6_NSA_6detail15normal_iteratorINSA_10device_ptrIfEEEE22summary_stats_unary_opIfEEEPS6_S6_23summary_stats_binary_opIfEEE10hipError_tPvRmT1_T2_T3_mT4_P12ihipStream_tbEUlT_E0_NS1_11comp_targetILNS1_3genE2ELNS1_11target_archE906ELNS1_3gpuE6ELNS1_3repE0EEENS1_30default_config_static_selectorELNS0_4arch9wavefront6targetE0EEEvSR_
	.p2align	8
	.type	_ZN7rocprim17ROCPRIM_400000_NS6detail17trampoline_kernelINS0_14default_configENS1_22reduce_config_selectorI18summary_stats_dataIfEEEZNS1_11reduce_implILb1ES3_N6thrust23THRUST_200600_302600_NS11hip_rocprim26transform_input_iterator_tIS6_NSA_6detail15normal_iteratorINSA_10device_ptrIfEEEE22summary_stats_unary_opIfEEEPS6_S6_23summary_stats_binary_opIfEEE10hipError_tPvRmT1_T2_T3_mT4_P12ihipStream_tbEUlT_E0_NS1_11comp_targetILNS1_3genE2ELNS1_11target_archE906ELNS1_3gpuE6ELNS1_3repE0EEENS1_30default_config_static_selectorELNS0_4arch9wavefront6targetE0EEEvSR_,@function
_ZN7rocprim17ROCPRIM_400000_NS6detail17trampoline_kernelINS0_14default_configENS1_22reduce_config_selectorI18summary_stats_dataIfEEEZNS1_11reduce_implILb1ES3_N6thrust23THRUST_200600_302600_NS11hip_rocprim26transform_input_iterator_tIS6_NSA_6detail15normal_iteratorINSA_10device_ptrIfEEEE22summary_stats_unary_opIfEEEPS6_S6_23summary_stats_binary_opIfEEE10hipError_tPvRmT1_T2_T3_mT4_P12ihipStream_tbEUlT_E0_NS1_11comp_targetILNS1_3genE2ELNS1_11target_archE906ELNS1_3gpuE6ELNS1_3repE0EEENS1_30default_config_static_selectorELNS0_4arch9wavefront6targetE0EEEvSR_: ; @_ZN7rocprim17ROCPRIM_400000_NS6detail17trampoline_kernelINS0_14default_configENS1_22reduce_config_selectorI18summary_stats_dataIfEEEZNS1_11reduce_implILb1ES3_N6thrust23THRUST_200600_302600_NS11hip_rocprim26transform_input_iterator_tIS6_NSA_6detail15normal_iteratorINSA_10device_ptrIfEEEE22summary_stats_unary_opIfEEEPS6_S6_23summary_stats_binary_opIfEEE10hipError_tPvRmT1_T2_T3_mT4_P12ihipStream_tbEUlT_E0_NS1_11comp_targetILNS1_3genE2ELNS1_11target_archE906ELNS1_3gpuE6ELNS1_3repE0EEENS1_30default_config_static_selectorELNS0_4arch9wavefront6targetE0EEEvSR_
; %bb.0:
	.section	.rodata,"a",@progbits
	.p2align	6, 0x0
	.amdhsa_kernel _ZN7rocprim17ROCPRIM_400000_NS6detail17trampoline_kernelINS0_14default_configENS1_22reduce_config_selectorI18summary_stats_dataIfEEEZNS1_11reduce_implILb1ES3_N6thrust23THRUST_200600_302600_NS11hip_rocprim26transform_input_iterator_tIS6_NSA_6detail15normal_iteratorINSA_10device_ptrIfEEEE22summary_stats_unary_opIfEEEPS6_S6_23summary_stats_binary_opIfEEE10hipError_tPvRmT1_T2_T3_mT4_P12ihipStream_tbEUlT_E0_NS1_11comp_targetILNS1_3genE2ELNS1_11target_archE906ELNS1_3gpuE6ELNS1_3repE0EEENS1_30default_config_static_selectorELNS0_4arch9wavefront6targetE0EEEvSR_
		.amdhsa_group_segment_fixed_size 0
		.amdhsa_private_segment_fixed_size 0
		.amdhsa_kernarg_size 88
		.amdhsa_user_sgpr_count 2
		.amdhsa_user_sgpr_dispatch_ptr 0
		.amdhsa_user_sgpr_queue_ptr 0
		.amdhsa_user_sgpr_kernarg_segment_ptr 1
		.amdhsa_user_sgpr_dispatch_id 0
		.amdhsa_user_sgpr_kernarg_preload_length 0
		.amdhsa_user_sgpr_kernarg_preload_offset 0
		.amdhsa_user_sgpr_private_segment_size 0
		.amdhsa_wavefront_size32 1
		.amdhsa_uses_dynamic_stack 0
		.amdhsa_enable_private_segment 0
		.amdhsa_system_sgpr_workgroup_id_x 1
		.amdhsa_system_sgpr_workgroup_id_y 0
		.amdhsa_system_sgpr_workgroup_id_z 0
		.amdhsa_system_sgpr_workgroup_info 0
		.amdhsa_system_vgpr_workitem_id 0
		.amdhsa_next_free_vgpr 1
		.amdhsa_next_free_sgpr 1
		.amdhsa_named_barrier_count 0
		.amdhsa_reserve_vcc 0
		.amdhsa_float_round_mode_32 0
		.amdhsa_float_round_mode_16_64 0
		.amdhsa_float_denorm_mode_32 3
		.amdhsa_float_denorm_mode_16_64 3
		.amdhsa_fp16_overflow 0
		.amdhsa_memory_ordered 1
		.amdhsa_forward_progress 1
		.amdhsa_inst_pref_size 0
		.amdhsa_round_robin_scheduling 0
		.amdhsa_exception_fp_ieee_invalid_op 0
		.amdhsa_exception_fp_denorm_src 0
		.amdhsa_exception_fp_ieee_div_zero 0
		.amdhsa_exception_fp_ieee_overflow 0
		.amdhsa_exception_fp_ieee_underflow 0
		.amdhsa_exception_fp_ieee_inexact 0
		.amdhsa_exception_int_div_zero 0
	.end_amdhsa_kernel
	.section	.text._ZN7rocprim17ROCPRIM_400000_NS6detail17trampoline_kernelINS0_14default_configENS1_22reduce_config_selectorI18summary_stats_dataIfEEEZNS1_11reduce_implILb1ES3_N6thrust23THRUST_200600_302600_NS11hip_rocprim26transform_input_iterator_tIS6_NSA_6detail15normal_iteratorINSA_10device_ptrIfEEEE22summary_stats_unary_opIfEEEPS6_S6_23summary_stats_binary_opIfEEE10hipError_tPvRmT1_T2_T3_mT4_P12ihipStream_tbEUlT_E0_NS1_11comp_targetILNS1_3genE2ELNS1_11target_archE906ELNS1_3gpuE6ELNS1_3repE0EEENS1_30default_config_static_selectorELNS0_4arch9wavefront6targetE0EEEvSR_,"axG",@progbits,_ZN7rocprim17ROCPRIM_400000_NS6detail17trampoline_kernelINS0_14default_configENS1_22reduce_config_selectorI18summary_stats_dataIfEEEZNS1_11reduce_implILb1ES3_N6thrust23THRUST_200600_302600_NS11hip_rocprim26transform_input_iterator_tIS6_NSA_6detail15normal_iteratorINSA_10device_ptrIfEEEE22summary_stats_unary_opIfEEEPS6_S6_23summary_stats_binary_opIfEEE10hipError_tPvRmT1_T2_T3_mT4_P12ihipStream_tbEUlT_E0_NS1_11comp_targetILNS1_3genE2ELNS1_11target_archE906ELNS1_3gpuE6ELNS1_3repE0EEENS1_30default_config_static_selectorELNS0_4arch9wavefront6targetE0EEEvSR_,comdat
.Lfunc_end22:
	.size	_ZN7rocprim17ROCPRIM_400000_NS6detail17trampoline_kernelINS0_14default_configENS1_22reduce_config_selectorI18summary_stats_dataIfEEEZNS1_11reduce_implILb1ES3_N6thrust23THRUST_200600_302600_NS11hip_rocprim26transform_input_iterator_tIS6_NSA_6detail15normal_iteratorINSA_10device_ptrIfEEEE22summary_stats_unary_opIfEEEPS6_S6_23summary_stats_binary_opIfEEE10hipError_tPvRmT1_T2_T3_mT4_P12ihipStream_tbEUlT_E0_NS1_11comp_targetILNS1_3genE2ELNS1_11target_archE906ELNS1_3gpuE6ELNS1_3repE0EEENS1_30default_config_static_selectorELNS0_4arch9wavefront6targetE0EEEvSR_, .Lfunc_end22-_ZN7rocprim17ROCPRIM_400000_NS6detail17trampoline_kernelINS0_14default_configENS1_22reduce_config_selectorI18summary_stats_dataIfEEEZNS1_11reduce_implILb1ES3_N6thrust23THRUST_200600_302600_NS11hip_rocprim26transform_input_iterator_tIS6_NSA_6detail15normal_iteratorINSA_10device_ptrIfEEEE22summary_stats_unary_opIfEEEPS6_S6_23summary_stats_binary_opIfEEE10hipError_tPvRmT1_T2_T3_mT4_P12ihipStream_tbEUlT_E0_NS1_11comp_targetILNS1_3genE2ELNS1_11target_archE906ELNS1_3gpuE6ELNS1_3repE0EEENS1_30default_config_static_selectorELNS0_4arch9wavefront6targetE0EEEvSR_
                                        ; -- End function
	.set _ZN7rocprim17ROCPRIM_400000_NS6detail17trampoline_kernelINS0_14default_configENS1_22reduce_config_selectorI18summary_stats_dataIfEEEZNS1_11reduce_implILb1ES3_N6thrust23THRUST_200600_302600_NS11hip_rocprim26transform_input_iterator_tIS6_NSA_6detail15normal_iteratorINSA_10device_ptrIfEEEE22summary_stats_unary_opIfEEEPS6_S6_23summary_stats_binary_opIfEEE10hipError_tPvRmT1_T2_T3_mT4_P12ihipStream_tbEUlT_E0_NS1_11comp_targetILNS1_3genE2ELNS1_11target_archE906ELNS1_3gpuE6ELNS1_3repE0EEENS1_30default_config_static_selectorELNS0_4arch9wavefront6targetE0EEEvSR_.num_vgpr, 0
	.set _ZN7rocprim17ROCPRIM_400000_NS6detail17trampoline_kernelINS0_14default_configENS1_22reduce_config_selectorI18summary_stats_dataIfEEEZNS1_11reduce_implILb1ES3_N6thrust23THRUST_200600_302600_NS11hip_rocprim26transform_input_iterator_tIS6_NSA_6detail15normal_iteratorINSA_10device_ptrIfEEEE22summary_stats_unary_opIfEEEPS6_S6_23summary_stats_binary_opIfEEE10hipError_tPvRmT1_T2_T3_mT4_P12ihipStream_tbEUlT_E0_NS1_11comp_targetILNS1_3genE2ELNS1_11target_archE906ELNS1_3gpuE6ELNS1_3repE0EEENS1_30default_config_static_selectorELNS0_4arch9wavefront6targetE0EEEvSR_.num_agpr, 0
	.set _ZN7rocprim17ROCPRIM_400000_NS6detail17trampoline_kernelINS0_14default_configENS1_22reduce_config_selectorI18summary_stats_dataIfEEEZNS1_11reduce_implILb1ES3_N6thrust23THRUST_200600_302600_NS11hip_rocprim26transform_input_iterator_tIS6_NSA_6detail15normal_iteratorINSA_10device_ptrIfEEEE22summary_stats_unary_opIfEEEPS6_S6_23summary_stats_binary_opIfEEE10hipError_tPvRmT1_T2_T3_mT4_P12ihipStream_tbEUlT_E0_NS1_11comp_targetILNS1_3genE2ELNS1_11target_archE906ELNS1_3gpuE6ELNS1_3repE0EEENS1_30default_config_static_selectorELNS0_4arch9wavefront6targetE0EEEvSR_.numbered_sgpr, 0
	.set _ZN7rocprim17ROCPRIM_400000_NS6detail17trampoline_kernelINS0_14default_configENS1_22reduce_config_selectorI18summary_stats_dataIfEEEZNS1_11reduce_implILb1ES3_N6thrust23THRUST_200600_302600_NS11hip_rocprim26transform_input_iterator_tIS6_NSA_6detail15normal_iteratorINSA_10device_ptrIfEEEE22summary_stats_unary_opIfEEEPS6_S6_23summary_stats_binary_opIfEEE10hipError_tPvRmT1_T2_T3_mT4_P12ihipStream_tbEUlT_E0_NS1_11comp_targetILNS1_3genE2ELNS1_11target_archE906ELNS1_3gpuE6ELNS1_3repE0EEENS1_30default_config_static_selectorELNS0_4arch9wavefront6targetE0EEEvSR_.num_named_barrier, 0
	.set _ZN7rocprim17ROCPRIM_400000_NS6detail17trampoline_kernelINS0_14default_configENS1_22reduce_config_selectorI18summary_stats_dataIfEEEZNS1_11reduce_implILb1ES3_N6thrust23THRUST_200600_302600_NS11hip_rocprim26transform_input_iterator_tIS6_NSA_6detail15normal_iteratorINSA_10device_ptrIfEEEE22summary_stats_unary_opIfEEEPS6_S6_23summary_stats_binary_opIfEEE10hipError_tPvRmT1_T2_T3_mT4_P12ihipStream_tbEUlT_E0_NS1_11comp_targetILNS1_3genE2ELNS1_11target_archE906ELNS1_3gpuE6ELNS1_3repE0EEENS1_30default_config_static_selectorELNS0_4arch9wavefront6targetE0EEEvSR_.private_seg_size, 0
	.set _ZN7rocprim17ROCPRIM_400000_NS6detail17trampoline_kernelINS0_14default_configENS1_22reduce_config_selectorI18summary_stats_dataIfEEEZNS1_11reduce_implILb1ES3_N6thrust23THRUST_200600_302600_NS11hip_rocprim26transform_input_iterator_tIS6_NSA_6detail15normal_iteratorINSA_10device_ptrIfEEEE22summary_stats_unary_opIfEEEPS6_S6_23summary_stats_binary_opIfEEE10hipError_tPvRmT1_T2_T3_mT4_P12ihipStream_tbEUlT_E0_NS1_11comp_targetILNS1_3genE2ELNS1_11target_archE906ELNS1_3gpuE6ELNS1_3repE0EEENS1_30default_config_static_selectorELNS0_4arch9wavefront6targetE0EEEvSR_.uses_vcc, 0
	.set _ZN7rocprim17ROCPRIM_400000_NS6detail17trampoline_kernelINS0_14default_configENS1_22reduce_config_selectorI18summary_stats_dataIfEEEZNS1_11reduce_implILb1ES3_N6thrust23THRUST_200600_302600_NS11hip_rocprim26transform_input_iterator_tIS6_NSA_6detail15normal_iteratorINSA_10device_ptrIfEEEE22summary_stats_unary_opIfEEEPS6_S6_23summary_stats_binary_opIfEEE10hipError_tPvRmT1_T2_T3_mT4_P12ihipStream_tbEUlT_E0_NS1_11comp_targetILNS1_3genE2ELNS1_11target_archE906ELNS1_3gpuE6ELNS1_3repE0EEENS1_30default_config_static_selectorELNS0_4arch9wavefront6targetE0EEEvSR_.uses_flat_scratch, 0
	.set _ZN7rocprim17ROCPRIM_400000_NS6detail17trampoline_kernelINS0_14default_configENS1_22reduce_config_selectorI18summary_stats_dataIfEEEZNS1_11reduce_implILb1ES3_N6thrust23THRUST_200600_302600_NS11hip_rocprim26transform_input_iterator_tIS6_NSA_6detail15normal_iteratorINSA_10device_ptrIfEEEE22summary_stats_unary_opIfEEEPS6_S6_23summary_stats_binary_opIfEEE10hipError_tPvRmT1_T2_T3_mT4_P12ihipStream_tbEUlT_E0_NS1_11comp_targetILNS1_3genE2ELNS1_11target_archE906ELNS1_3gpuE6ELNS1_3repE0EEENS1_30default_config_static_selectorELNS0_4arch9wavefront6targetE0EEEvSR_.has_dyn_sized_stack, 0
	.set _ZN7rocprim17ROCPRIM_400000_NS6detail17trampoline_kernelINS0_14default_configENS1_22reduce_config_selectorI18summary_stats_dataIfEEEZNS1_11reduce_implILb1ES3_N6thrust23THRUST_200600_302600_NS11hip_rocprim26transform_input_iterator_tIS6_NSA_6detail15normal_iteratorINSA_10device_ptrIfEEEE22summary_stats_unary_opIfEEEPS6_S6_23summary_stats_binary_opIfEEE10hipError_tPvRmT1_T2_T3_mT4_P12ihipStream_tbEUlT_E0_NS1_11comp_targetILNS1_3genE2ELNS1_11target_archE906ELNS1_3gpuE6ELNS1_3repE0EEENS1_30default_config_static_selectorELNS0_4arch9wavefront6targetE0EEEvSR_.has_recursion, 0
	.set _ZN7rocprim17ROCPRIM_400000_NS6detail17trampoline_kernelINS0_14default_configENS1_22reduce_config_selectorI18summary_stats_dataIfEEEZNS1_11reduce_implILb1ES3_N6thrust23THRUST_200600_302600_NS11hip_rocprim26transform_input_iterator_tIS6_NSA_6detail15normal_iteratorINSA_10device_ptrIfEEEE22summary_stats_unary_opIfEEEPS6_S6_23summary_stats_binary_opIfEEE10hipError_tPvRmT1_T2_T3_mT4_P12ihipStream_tbEUlT_E0_NS1_11comp_targetILNS1_3genE2ELNS1_11target_archE906ELNS1_3gpuE6ELNS1_3repE0EEENS1_30default_config_static_selectorELNS0_4arch9wavefront6targetE0EEEvSR_.has_indirect_call, 0
	.section	.AMDGPU.csdata,"",@progbits
; Kernel info:
; codeLenInByte = 0
; TotalNumSgprs: 0
; NumVgprs: 0
; ScratchSize: 0
; MemoryBound: 0
; FloatMode: 240
; IeeeMode: 1
; LDSByteSize: 0 bytes/workgroup (compile time only)
; SGPRBlocks: 0
; VGPRBlocks: 0
; NumSGPRsForWavesPerEU: 1
; NumVGPRsForWavesPerEU: 1
; NamedBarCnt: 0
; Occupancy: 16
; WaveLimiterHint : 0
; COMPUTE_PGM_RSRC2:SCRATCH_EN: 0
; COMPUTE_PGM_RSRC2:USER_SGPR: 2
; COMPUTE_PGM_RSRC2:TRAP_HANDLER: 0
; COMPUTE_PGM_RSRC2:TGID_X_EN: 1
; COMPUTE_PGM_RSRC2:TGID_Y_EN: 0
; COMPUTE_PGM_RSRC2:TGID_Z_EN: 0
; COMPUTE_PGM_RSRC2:TIDIG_COMP_CNT: 0
	.section	.text._ZN7rocprim17ROCPRIM_400000_NS6detail17trampoline_kernelINS0_14default_configENS1_22reduce_config_selectorI18summary_stats_dataIfEEEZNS1_11reduce_implILb1ES3_N6thrust23THRUST_200600_302600_NS11hip_rocprim26transform_input_iterator_tIS6_NSA_6detail15normal_iteratorINSA_10device_ptrIfEEEE22summary_stats_unary_opIfEEEPS6_S6_23summary_stats_binary_opIfEEE10hipError_tPvRmT1_T2_T3_mT4_P12ihipStream_tbEUlT_E0_NS1_11comp_targetILNS1_3genE10ELNS1_11target_archE1201ELNS1_3gpuE5ELNS1_3repE0EEENS1_30default_config_static_selectorELNS0_4arch9wavefront6targetE0EEEvSR_,"axG",@progbits,_ZN7rocprim17ROCPRIM_400000_NS6detail17trampoline_kernelINS0_14default_configENS1_22reduce_config_selectorI18summary_stats_dataIfEEEZNS1_11reduce_implILb1ES3_N6thrust23THRUST_200600_302600_NS11hip_rocprim26transform_input_iterator_tIS6_NSA_6detail15normal_iteratorINSA_10device_ptrIfEEEE22summary_stats_unary_opIfEEEPS6_S6_23summary_stats_binary_opIfEEE10hipError_tPvRmT1_T2_T3_mT4_P12ihipStream_tbEUlT_E0_NS1_11comp_targetILNS1_3genE10ELNS1_11target_archE1201ELNS1_3gpuE5ELNS1_3repE0EEENS1_30default_config_static_selectorELNS0_4arch9wavefront6targetE0EEEvSR_,comdat
	.protected	_ZN7rocprim17ROCPRIM_400000_NS6detail17trampoline_kernelINS0_14default_configENS1_22reduce_config_selectorI18summary_stats_dataIfEEEZNS1_11reduce_implILb1ES3_N6thrust23THRUST_200600_302600_NS11hip_rocprim26transform_input_iterator_tIS6_NSA_6detail15normal_iteratorINSA_10device_ptrIfEEEE22summary_stats_unary_opIfEEEPS6_S6_23summary_stats_binary_opIfEEE10hipError_tPvRmT1_T2_T3_mT4_P12ihipStream_tbEUlT_E0_NS1_11comp_targetILNS1_3genE10ELNS1_11target_archE1201ELNS1_3gpuE5ELNS1_3repE0EEENS1_30default_config_static_selectorELNS0_4arch9wavefront6targetE0EEEvSR_ ; -- Begin function _ZN7rocprim17ROCPRIM_400000_NS6detail17trampoline_kernelINS0_14default_configENS1_22reduce_config_selectorI18summary_stats_dataIfEEEZNS1_11reduce_implILb1ES3_N6thrust23THRUST_200600_302600_NS11hip_rocprim26transform_input_iterator_tIS6_NSA_6detail15normal_iteratorINSA_10device_ptrIfEEEE22summary_stats_unary_opIfEEEPS6_S6_23summary_stats_binary_opIfEEE10hipError_tPvRmT1_T2_T3_mT4_P12ihipStream_tbEUlT_E0_NS1_11comp_targetILNS1_3genE10ELNS1_11target_archE1201ELNS1_3gpuE5ELNS1_3repE0EEENS1_30default_config_static_selectorELNS0_4arch9wavefront6targetE0EEEvSR_
	.globl	_ZN7rocprim17ROCPRIM_400000_NS6detail17trampoline_kernelINS0_14default_configENS1_22reduce_config_selectorI18summary_stats_dataIfEEEZNS1_11reduce_implILb1ES3_N6thrust23THRUST_200600_302600_NS11hip_rocprim26transform_input_iterator_tIS6_NSA_6detail15normal_iteratorINSA_10device_ptrIfEEEE22summary_stats_unary_opIfEEEPS6_S6_23summary_stats_binary_opIfEEE10hipError_tPvRmT1_T2_T3_mT4_P12ihipStream_tbEUlT_E0_NS1_11comp_targetILNS1_3genE10ELNS1_11target_archE1201ELNS1_3gpuE5ELNS1_3repE0EEENS1_30default_config_static_selectorELNS0_4arch9wavefront6targetE0EEEvSR_
	.p2align	8
	.type	_ZN7rocprim17ROCPRIM_400000_NS6detail17trampoline_kernelINS0_14default_configENS1_22reduce_config_selectorI18summary_stats_dataIfEEEZNS1_11reduce_implILb1ES3_N6thrust23THRUST_200600_302600_NS11hip_rocprim26transform_input_iterator_tIS6_NSA_6detail15normal_iteratorINSA_10device_ptrIfEEEE22summary_stats_unary_opIfEEEPS6_S6_23summary_stats_binary_opIfEEE10hipError_tPvRmT1_T2_T3_mT4_P12ihipStream_tbEUlT_E0_NS1_11comp_targetILNS1_3genE10ELNS1_11target_archE1201ELNS1_3gpuE5ELNS1_3repE0EEENS1_30default_config_static_selectorELNS0_4arch9wavefront6targetE0EEEvSR_,@function
_ZN7rocprim17ROCPRIM_400000_NS6detail17trampoline_kernelINS0_14default_configENS1_22reduce_config_selectorI18summary_stats_dataIfEEEZNS1_11reduce_implILb1ES3_N6thrust23THRUST_200600_302600_NS11hip_rocprim26transform_input_iterator_tIS6_NSA_6detail15normal_iteratorINSA_10device_ptrIfEEEE22summary_stats_unary_opIfEEEPS6_S6_23summary_stats_binary_opIfEEE10hipError_tPvRmT1_T2_T3_mT4_P12ihipStream_tbEUlT_E0_NS1_11comp_targetILNS1_3genE10ELNS1_11target_archE1201ELNS1_3gpuE5ELNS1_3repE0EEENS1_30default_config_static_selectorELNS0_4arch9wavefront6targetE0EEEvSR_: ; @_ZN7rocprim17ROCPRIM_400000_NS6detail17trampoline_kernelINS0_14default_configENS1_22reduce_config_selectorI18summary_stats_dataIfEEEZNS1_11reduce_implILb1ES3_N6thrust23THRUST_200600_302600_NS11hip_rocprim26transform_input_iterator_tIS6_NSA_6detail15normal_iteratorINSA_10device_ptrIfEEEE22summary_stats_unary_opIfEEEPS6_S6_23summary_stats_binary_opIfEEE10hipError_tPvRmT1_T2_T3_mT4_P12ihipStream_tbEUlT_E0_NS1_11comp_targetILNS1_3genE10ELNS1_11target_archE1201ELNS1_3gpuE5ELNS1_3repE0EEENS1_30default_config_static_selectorELNS0_4arch9wavefront6targetE0EEEvSR_
; %bb.0:
	.section	.rodata,"a",@progbits
	.p2align	6, 0x0
	.amdhsa_kernel _ZN7rocprim17ROCPRIM_400000_NS6detail17trampoline_kernelINS0_14default_configENS1_22reduce_config_selectorI18summary_stats_dataIfEEEZNS1_11reduce_implILb1ES3_N6thrust23THRUST_200600_302600_NS11hip_rocprim26transform_input_iterator_tIS6_NSA_6detail15normal_iteratorINSA_10device_ptrIfEEEE22summary_stats_unary_opIfEEEPS6_S6_23summary_stats_binary_opIfEEE10hipError_tPvRmT1_T2_T3_mT4_P12ihipStream_tbEUlT_E0_NS1_11comp_targetILNS1_3genE10ELNS1_11target_archE1201ELNS1_3gpuE5ELNS1_3repE0EEENS1_30default_config_static_selectorELNS0_4arch9wavefront6targetE0EEEvSR_
		.amdhsa_group_segment_fixed_size 0
		.amdhsa_private_segment_fixed_size 0
		.amdhsa_kernarg_size 88
		.amdhsa_user_sgpr_count 2
		.amdhsa_user_sgpr_dispatch_ptr 0
		.amdhsa_user_sgpr_queue_ptr 0
		.amdhsa_user_sgpr_kernarg_segment_ptr 1
		.amdhsa_user_sgpr_dispatch_id 0
		.amdhsa_user_sgpr_kernarg_preload_length 0
		.amdhsa_user_sgpr_kernarg_preload_offset 0
		.amdhsa_user_sgpr_private_segment_size 0
		.amdhsa_wavefront_size32 1
		.amdhsa_uses_dynamic_stack 0
		.amdhsa_enable_private_segment 0
		.amdhsa_system_sgpr_workgroup_id_x 1
		.amdhsa_system_sgpr_workgroup_id_y 0
		.amdhsa_system_sgpr_workgroup_id_z 0
		.amdhsa_system_sgpr_workgroup_info 0
		.amdhsa_system_vgpr_workitem_id 0
		.amdhsa_next_free_vgpr 1
		.amdhsa_next_free_sgpr 1
		.amdhsa_named_barrier_count 0
		.amdhsa_reserve_vcc 0
		.amdhsa_float_round_mode_32 0
		.amdhsa_float_round_mode_16_64 0
		.amdhsa_float_denorm_mode_32 3
		.amdhsa_float_denorm_mode_16_64 3
		.amdhsa_fp16_overflow 0
		.amdhsa_memory_ordered 1
		.amdhsa_forward_progress 1
		.amdhsa_inst_pref_size 0
		.amdhsa_round_robin_scheduling 0
		.amdhsa_exception_fp_ieee_invalid_op 0
		.amdhsa_exception_fp_denorm_src 0
		.amdhsa_exception_fp_ieee_div_zero 0
		.amdhsa_exception_fp_ieee_overflow 0
		.amdhsa_exception_fp_ieee_underflow 0
		.amdhsa_exception_fp_ieee_inexact 0
		.amdhsa_exception_int_div_zero 0
	.end_amdhsa_kernel
	.section	.text._ZN7rocprim17ROCPRIM_400000_NS6detail17trampoline_kernelINS0_14default_configENS1_22reduce_config_selectorI18summary_stats_dataIfEEEZNS1_11reduce_implILb1ES3_N6thrust23THRUST_200600_302600_NS11hip_rocprim26transform_input_iterator_tIS6_NSA_6detail15normal_iteratorINSA_10device_ptrIfEEEE22summary_stats_unary_opIfEEEPS6_S6_23summary_stats_binary_opIfEEE10hipError_tPvRmT1_T2_T3_mT4_P12ihipStream_tbEUlT_E0_NS1_11comp_targetILNS1_3genE10ELNS1_11target_archE1201ELNS1_3gpuE5ELNS1_3repE0EEENS1_30default_config_static_selectorELNS0_4arch9wavefront6targetE0EEEvSR_,"axG",@progbits,_ZN7rocprim17ROCPRIM_400000_NS6detail17trampoline_kernelINS0_14default_configENS1_22reduce_config_selectorI18summary_stats_dataIfEEEZNS1_11reduce_implILb1ES3_N6thrust23THRUST_200600_302600_NS11hip_rocprim26transform_input_iterator_tIS6_NSA_6detail15normal_iteratorINSA_10device_ptrIfEEEE22summary_stats_unary_opIfEEEPS6_S6_23summary_stats_binary_opIfEEE10hipError_tPvRmT1_T2_T3_mT4_P12ihipStream_tbEUlT_E0_NS1_11comp_targetILNS1_3genE10ELNS1_11target_archE1201ELNS1_3gpuE5ELNS1_3repE0EEENS1_30default_config_static_selectorELNS0_4arch9wavefront6targetE0EEEvSR_,comdat
.Lfunc_end23:
	.size	_ZN7rocprim17ROCPRIM_400000_NS6detail17trampoline_kernelINS0_14default_configENS1_22reduce_config_selectorI18summary_stats_dataIfEEEZNS1_11reduce_implILb1ES3_N6thrust23THRUST_200600_302600_NS11hip_rocprim26transform_input_iterator_tIS6_NSA_6detail15normal_iteratorINSA_10device_ptrIfEEEE22summary_stats_unary_opIfEEEPS6_S6_23summary_stats_binary_opIfEEE10hipError_tPvRmT1_T2_T3_mT4_P12ihipStream_tbEUlT_E0_NS1_11comp_targetILNS1_3genE10ELNS1_11target_archE1201ELNS1_3gpuE5ELNS1_3repE0EEENS1_30default_config_static_selectorELNS0_4arch9wavefront6targetE0EEEvSR_, .Lfunc_end23-_ZN7rocprim17ROCPRIM_400000_NS6detail17trampoline_kernelINS0_14default_configENS1_22reduce_config_selectorI18summary_stats_dataIfEEEZNS1_11reduce_implILb1ES3_N6thrust23THRUST_200600_302600_NS11hip_rocprim26transform_input_iterator_tIS6_NSA_6detail15normal_iteratorINSA_10device_ptrIfEEEE22summary_stats_unary_opIfEEEPS6_S6_23summary_stats_binary_opIfEEE10hipError_tPvRmT1_T2_T3_mT4_P12ihipStream_tbEUlT_E0_NS1_11comp_targetILNS1_3genE10ELNS1_11target_archE1201ELNS1_3gpuE5ELNS1_3repE0EEENS1_30default_config_static_selectorELNS0_4arch9wavefront6targetE0EEEvSR_
                                        ; -- End function
	.set _ZN7rocprim17ROCPRIM_400000_NS6detail17trampoline_kernelINS0_14default_configENS1_22reduce_config_selectorI18summary_stats_dataIfEEEZNS1_11reduce_implILb1ES3_N6thrust23THRUST_200600_302600_NS11hip_rocprim26transform_input_iterator_tIS6_NSA_6detail15normal_iteratorINSA_10device_ptrIfEEEE22summary_stats_unary_opIfEEEPS6_S6_23summary_stats_binary_opIfEEE10hipError_tPvRmT1_T2_T3_mT4_P12ihipStream_tbEUlT_E0_NS1_11comp_targetILNS1_3genE10ELNS1_11target_archE1201ELNS1_3gpuE5ELNS1_3repE0EEENS1_30default_config_static_selectorELNS0_4arch9wavefront6targetE0EEEvSR_.num_vgpr, 0
	.set _ZN7rocprim17ROCPRIM_400000_NS6detail17trampoline_kernelINS0_14default_configENS1_22reduce_config_selectorI18summary_stats_dataIfEEEZNS1_11reduce_implILb1ES3_N6thrust23THRUST_200600_302600_NS11hip_rocprim26transform_input_iterator_tIS6_NSA_6detail15normal_iteratorINSA_10device_ptrIfEEEE22summary_stats_unary_opIfEEEPS6_S6_23summary_stats_binary_opIfEEE10hipError_tPvRmT1_T2_T3_mT4_P12ihipStream_tbEUlT_E0_NS1_11comp_targetILNS1_3genE10ELNS1_11target_archE1201ELNS1_3gpuE5ELNS1_3repE0EEENS1_30default_config_static_selectorELNS0_4arch9wavefront6targetE0EEEvSR_.num_agpr, 0
	.set _ZN7rocprim17ROCPRIM_400000_NS6detail17trampoline_kernelINS0_14default_configENS1_22reduce_config_selectorI18summary_stats_dataIfEEEZNS1_11reduce_implILb1ES3_N6thrust23THRUST_200600_302600_NS11hip_rocprim26transform_input_iterator_tIS6_NSA_6detail15normal_iteratorINSA_10device_ptrIfEEEE22summary_stats_unary_opIfEEEPS6_S6_23summary_stats_binary_opIfEEE10hipError_tPvRmT1_T2_T3_mT4_P12ihipStream_tbEUlT_E0_NS1_11comp_targetILNS1_3genE10ELNS1_11target_archE1201ELNS1_3gpuE5ELNS1_3repE0EEENS1_30default_config_static_selectorELNS0_4arch9wavefront6targetE0EEEvSR_.numbered_sgpr, 0
	.set _ZN7rocprim17ROCPRIM_400000_NS6detail17trampoline_kernelINS0_14default_configENS1_22reduce_config_selectorI18summary_stats_dataIfEEEZNS1_11reduce_implILb1ES3_N6thrust23THRUST_200600_302600_NS11hip_rocprim26transform_input_iterator_tIS6_NSA_6detail15normal_iteratorINSA_10device_ptrIfEEEE22summary_stats_unary_opIfEEEPS6_S6_23summary_stats_binary_opIfEEE10hipError_tPvRmT1_T2_T3_mT4_P12ihipStream_tbEUlT_E0_NS1_11comp_targetILNS1_3genE10ELNS1_11target_archE1201ELNS1_3gpuE5ELNS1_3repE0EEENS1_30default_config_static_selectorELNS0_4arch9wavefront6targetE0EEEvSR_.num_named_barrier, 0
	.set _ZN7rocprim17ROCPRIM_400000_NS6detail17trampoline_kernelINS0_14default_configENS1_22reduce_config_selectorI18summary_stats_dataIfEEEZNS1_11reduce_implILb1ES3_N6thrust23THRUST_200600_302600_NS11hip_rocprim26transform_input_iterator_tIS6_NSA_6detail15normal_iteratorINSA_10device_ptrIfEEEE22summary_stats_unary_opIfEEEPS6_S6_23summary_stats_binary_opIfEEE10hipError_tPvRmT1_T2_T3_mT4_P12ihipStream_tbEUlT_E0_NS1_11comp_targetILNS1_3genE10ELNS1_11target_archE1201ELNS1_3gpuE5ELNS1_3repE0EEENS1_30default_config_static_selectorELNS0_4arch9wavefront6targetE0EEEvSR_.private_seg_size, 0
	.set _ZN7rocprim17ROCPRIM_400000_NS6detail17trampoline_kernelINS0_14default_configENS1_22reduce_config_selectorI18summary_stats_dataIfEEEZNS1_11reduce_implILb1ES3_N6thrust23THRUST_200600_302600_NS11hip_rocprim26transform_input_iterator_tIS6_NSA_6detail15normal_iteratorINSA_10device_ptrIfEEEE22summary_stats_unary_opIfEEEPS6_S6_23summary_stats_binary_opIfEEE10hipError_tPvRmT1_T2_T3_mT4_P12ihipStream_tbEUlT_E0_NS1_11comp_targetILNS1_3genE10ELNS1_11target_archE1201ELNS1_3gpuE5ELNS1_3repE0EEENS1_30default_config_static_selectorELNS0_4arch9wavefront6targetE0EEEvSR_.uses_vcc, 0
	.set _ZN7rocprim17ROCPRIM_400000_NS6detail17trampoline_kernelINS0_14default_configENS1_22reduce_config_selectorI18summary_stats_dataIfEEEZNS1_11reduce_implILb1ES3_N6thrust23THRUST_200600_302600_NS11hip_rocprim26transform_input_iterator_tIS6_NSA_6detail15normal_iteratorINSA_10device_ptrIfEEEE22summary_stats_unary_opIfEEEPS6_S6_23summary_stats_binary_opIfEEE10hipError_tPvRmT1_T2_T3_mT4_P12ihipStream_tbEUlT_E0_NS1_11comp_targetILNS1_3genE10ELNS1_11target_archE1201ELNS1_3gpuE5ELNS1_3repE0EEENS1_30default_config_static_selectorELNS0_4arch9wavefront6targetE0EEEvSR_.uses_flat_scratch, 0
	.set _ZN7rocprim17ROCPRIM_400000_NS6detail17trampoline_kernelINS0_14default_configENS1_22reduce_config_selectorI18summary_stats_dataIfEEEZNS1_11reduce_implILb1ES3_N6thrust23THRUST_200600_302600_NS11hip_rocprim26transform_input_iterator_tIS6_NSA_6detail15normal_iteratorINSA_10device_ptrIfEEEE22summary_stats_unary_opIfEEEPS6_S6_23summary_stats_binary_opIfEEE10hipError_tPvRmT1_T2_T3_mT4_P12ihipStream_tbEUlT_E0_NS1_11comp_targetILNS1_3genE10ELNS1_11target_archE1201ELNS1_3gpuE5ELNS1_3repE0EEENS1_30default_config_static_selectorELNS0_4arch9wavefront6targetE0EEEvSR_.has_dyn_sized_stack, 0
	.set _ZN7rocprim17ROCPRIM_400000_NS6detail17trampoline_kernelINS0_14default_configENS1_22reduce_config_selectorI18summary_stats_dataIfEEEZNS1_11reduce_implILb1ES3_N6thrust23THRUST_200600_302600_NS11hip_rocprim26transform_input_iterator_tIS6_NSA_6detail15normal_iteratorINSA_10device_ptrIfEEEE22summary_stats_unary_opIfEEEPS6_S6_23summary_stats_binary_opIfEEE10hipError_tPvRmT1_T2_T3_mT4_P12ihipStream_tbEUlT_E0_NS1_11comp_targetILNS1_3genE10ELNS1_11target_archE1201ELNS1_3gpuE5ELNS1_3repE0EEENS1_30default_config_static_selectorELNS0_4arch9wavefront6targetE0EEEvSR_.has_recursion, 0
	.set _ZN7rocprim17ROCPRIM_400000_NS6detail17trampoline_kernelINS0_14default_configENS1_22reduce_config_selectorI18summary_stats_dataIfEEEZNS1_11reduce_implILb1ES3_N6thrust23THRUST_200600_302600_NS11hip_rocprim26transform_input_iterator_tIS6_NSA_6detail15normal_iteratorINSA_10device_ptrIfEEEE22summary_stats_unary_opIfEEEPS6_S6_23summary_stats_binary_opIfEEE10hipError_tPvRmT1_T2_T3_mT4_P12ihipStream_tbEUlT_E0_NS1_11comp_targetILNS1_3genE10ELNS1_11target_archE1201ELNS1_3gpuE5ELNS1_3repE0EEENS1_30default_config_static_selectorELNS0_4arch9wavefront6targetE0EEEvSR_.has_indirect_call, 0
	.section	.AMDGPU.csdata,"",@progbits
; Kernel info:
; codeLenInByte = 0
; TotalNumSgprs: 0
; NumVgprs: 0
; ScratchSize: 0
; MemoryBound: 0
; FloatMode: 240
; IeeeMode: 1
; LDSByteSize: 0 bytes/workgroup (compile time only)
; SGPRBlocks: 0
; VGPRBlocks: 0
; NumSGPRsForWavesPerEU: 1
; NumVGPRsForWavesPerEU: 1
; NamedBarCnt: 0
; Occupancy: 16
; WaveLimiterHint : 0
; COMPUTE_PGM_RSRC2:SCRATCH_EN: 0
; COMPUTE_PGM_RSRC2:USER_SGPR: 2
; COMPUTE_PGM_RSRC2:TRAP_HANDLER: 0
; COMPUTE_PGM_RSRC2:TGID_X_EN: 1
; COMPUTE_PGM_RSRC2:TGID_Y_EN: 0
; COMPUTE_PGM_RSRC2:TGID_Z_EN: 0
; COMPUTE_PGM_RSRC2:TIDIG_COMP_CNT: 0
	.section	.text._ZN7rocprim17ROCPRIM_400000_NS6detail17trampoline_kernelINS0_14default_configENS1_22reduce_config_selectorI18summary_stats_dataIfEEEZNS1_11reduce_implILb1ES3_N6thrust23THRUST_200600_302600_NS11hip_rocprim26transform_input_iterator_tIS6_NSA_6detail15normal_iteratorINSA_10device_ptrIfEEEE22summary_stats_unary_opIfEEEPS6_S6_23summary_stats_binary_opIfEEE10hipError_tPvRmT1_T2_T3_mT4_P12ihipStream_tbEUlT_E0_NS1_11comp_targetILNS1_3genE10ELNS1_11target_archE1200ELNS1_3gpuE4ELNS1_3repE0EEENS1_30default_config_static_selectorELNS0_4arch9wavefront6targetE0EEEvSR_,"axG",@progbits,_ZN7rocprim17ROCPRIM_400000_NS6detail17trampoline_kernelINS0_14default_configENS1_22reduce_config_selectorI18summary_stats_dataIfEEEZNS1_11reduce_implILb1ES3_N6thrust23THRUST_200600_302600_NS11hip_rocprim26transform_input_iterator_tIS6_NSA_6detail15normal_iteratorINSA_10device_ptrIfEEEE22summary_stats_unary_opIfEEEPS6_S6_23summary_stats_binary_opIfEEE10hipError_tPvRmT1_T2_T3_mT4_P12ihipStream_tbEUlT_E0_NS1_11comp_targetILNS1_3genE10ELNS1_11target_archE1200ELNS1_3gpuE4ELNS1_3repE0EEENS1_30default_config_static_selectorELNS0_4arch9wavefront6targetE0EEEvSR_,comdat
	.protected	_ZN7rocprim17ROCPRIM_400000_NS6detail17trampoline_kernelINS0_14default_configENS1_22reduce_config_selectorI18summary_stats_dataIfEEEZNS1_11reduce_implILb1ES3_N6thrust23THRUST_200600_302600_NS11hip_rocprim26transform_input_iterator_tIS6_NSA_6detail15normal_iteratorINSA_10device_ptrIfEEEE22summary_stats_unary_opIfEEEPS6_S6_23summary_stats_binary_opIfEEE10hipError_tPvRmT1_T2_T3_mT4_P12ihipStream_tbEUlT_E0_NS1_11comp_targetILNS1_3genE10ELNS1_11target_archE1200ELNS1_3gpuE4ELNS1_3repE0EEENS1_30default_config_static_selectorELNS0_4arch9wavefront6targetE0EEEvSR_ ; -- Begin function _ZN7rocprim17ROCPRIM_400000_NS6detail17trampoline_kernelINS0_14default_configENS1_22reduce_config_selectorI18summary_stats_dataIfEEEZNS1_11reduce_implILb1ES3_N6thrust23THRUST_200600_302600_NS11hip_rocprim26transform_input_iterator_tIS6_NSA_6detail15normal_iteratorINSA_10device_ptrIfEEEE22summary_stats_unary_opIfEEEPS6_S6_23summary_stats_binary_opIfEEE10hipError_tPvRmT1_T2_T3_mT4_P12ihipStream_tbEUlT_E0_NS1_11comp_targetILNS1_3genE10ELNS1_11target_archE1200ELNS1_3gpuE4ELNS1_3repE0EEENS1_30default_config_static_selectorELNS0_4arch9wavefront6targetE0EEEvSR_
	.globl	_ZN7rocprim17ROCPRIM_400000_NS6detail17trampoline_kernelINS0_14default_configENS1_22reduce_config_selectorI18summary_stats_dataIfEEEZNS1_11reduce_implILb1ES3_N6thrust23THRUST_200600_302600_NS11hip_rocprim26transform_input_iterator_tIS6_NSA_6detail15normal_iteratorINSA_10device_ptrIfEEEE22summary_stats_unary_opIfEEEPS6_S6_23summary_stats_binary_opIfEEE10hipError_tPvRmT1_T2_T3_mT4_P12ihipStream_tbEUlT_E0_NS1_11comp_targetILNS1_3genE10ELNS1_11target_archE1200ELNS1_3gpuE4ELNS1_3repE0EEENS1_30default_config_static_selectorELNS0_4arch9wavefront6targetE0EEEvSR_
	.p2align	8
	.type	_ZN7rocprim17ROCPRIM_400000_NS6detail17trampoline_kernelINS0_14default_configENS1_22reduce_config_selectorI18summary_stats_dataIfEEEZNS1_11reduce_implILb1ES3_N6thrust23THRUST_200600_302600_NS11hip_rocprim26transform_input_iterator_tIS6_NSA_6detail15normal_iteratorINSA_10device_ptrIfEEEE22summary_stats_unary_opIfEEEPS6_S6_23summary_stats_binary_opIfEEE10hipError_tPvRmT1_T2_T3_mT4_P12ihipStream_tbEUlT_E0_NS1_11comp_targetILNS1_3genE10ELNS1_11target_archE1200ELNS1_3gpuE4ELNS1_3repE0EEENS1_30default_config_static_selectorELNS0_4arch9wavefront6targetE0EEEvSR_,@function
_ZN7rocprim17ROCPRIM_400000_NS6detail17trampoline_kernelINS0_14default_configENS1_22reduce_config_selectorI18summary_stats_dataIfEEEZNS1_11reduce_implILb1ES3_N6thrust23THRUST_200600_302600_NS11hip_rocprim26transform_input_iterator_tIS6_NSA_6detail15normal_iteratorINSA_10device_ptrIfEEEE22summary_stats_unary_opIfEEEPS6_S6_23summary_stats_binary_opIfEEE10hipError_tPvRmT1_T2_T3_mT4_P12ihipStream_tbEUlT_E0_NS1_11comp_targetILNS1_3genE10ELNS1_11target_archE1200ELNS1_3gpuE4ELNS1_3repE0EEENS1_30default_config_static_selectorELNS0_4arch9wavefront6targetE0EEEvSR_: ; @_ZN7rocprim17ROCPRIM_400000_NS6detail17trampoline_kernelINS0_14default_configENS1_22reduce_config_selectorI18summary_stats_dataIfEEEZNS1_11reduce_implILb1ES3_N6thrust23THRUST_200600_302600_NS11hip_rocprim26transform_input_iterator_tIS6_NSA_6detail15normal_iteratorINSA_10device_ptrIfEEEE22summary_stats_unary_opIfEEEPS6_S6_23summary_stats_binary_opIfEEE10hipError_tPvRmT1_T2_T3_mT4_P12ihipStream_tbEUlT_E0_NS1_11comp_targetILNS1_3genE10ELNS1_11target_archE1200ELNS1_3gpuE4ELNS1_3repE0EEENS1_30default_config_static_selectorELNS0_4arch9wavefront6targetE0EEEvSR_
; %bb.0:
	.section	.rodata,"a",@progbits
	.p2align	6, 0x0
	.amdhsa_kernel _ZN7rocprim17ROCPRIM_400000_NS6detail17trampoline_kernelINS0_14default_configENS1_22reduce_config_selectorI18summary_stats_dataIfEEEZNS1_11reduce_implILb1ES3_N6thrust23THRUST_200600_302600_NS11hip_rocprim26transform_input_iterator_tIS6_NSA_6detail15normal_iteratorINSA_10device_ptrIfEEEE22summary_stats_unary_opIfEEEPS6_S6_23summary_stats_binary_opIfEEE10hipError_tPvRmT1_T2_T3_mT4_P12ihipStream_tbEUlT_E0_NS1_11comp_targetILNS1_3genE10ELNS1_11target_archE1200ELNS1_3gpuE4ELNS1_3repE0EEENS1_30default_config_static_selectorELNS0_4arch9wavefront6targetE0EEEvSR_
		.amdhsa_group_segment_fixed_size 0
		.amdhsa_private_segment_fixed_size 0
		.amdhsa_kernarg_size 88
		.amdhsa_user_sgpr_count 2
		.amdhsa_user_sgpr_dispatch_ptr 0
		.amdhsa_user_sgpr_queue_ptr 0
		.amdhsa_user_sgpr_kernarg_segment_ptr 1
		.amdhsa_user_sgpr_dispatch_id 0
		.amdhsa_user_sgpr_kernarg_preload_length 0
		.amdhsa_user_sgpr_kernarg_preload_offset 0
		.amdhsa_user_sgpr_private_segment_size 0
		.amdhsa_wavefront_size32 1
		.amdhsa_uses_dynamic_stack 0
		.amdhsa_enable_private_segment 0
		.amdhsa_system_sgpr_workgroup_id_x 1
		.amdhsa_system_sgpr_workgroup_id_y 0
		.amdhsa_system_sgpr_workgroup_id_z 0
		.amdhsa_system_sgpr_workgroup_info 0
		.amdhsa_system_vgpr_workitem_id 0
		.amdhsa_next_free_vgpr 1
		.amdhsa_next_free_sgpr 1
		.amdhsa_named_barrier_count 0
		.amdhsa_reserve_vcc 0
		.amdhsa_float_round_mode_32 0
		.amdhsa_float_round_mode_16_64 0
		.amdhsa_float_denorm_mode_32 3
		.amdhsa_float_denorm_mode_16_64 3
		.amdhsa_fp16_overflow 0
		.amdhsa_memory_ordered 1
		.amdhsa_forward_progress 1
		.amdhsa_inst_pref_size 0
		.amdhsa_round_robin_scheduling 0
		.amdhsa_exception_fp_ieee_invalid_op 0
		.amdhsa_exception_fp_denorm_src 0
		.amdhsa_exception_fp_ieee_div_zero 0
		.amdhsa_exception_fp_ieee_overflow 0
		.amdhsa_exception_fp_ieee_underflow 0
		.amdhsa_exception_fp_ieee_inexact 0
		.amdhsa_exception_int_div_zero 0
	.end_amdhsa_kernel
	.section	.text._ZN7rocprim17ROCPRIM_400000_NS6detail17trampoline_kernelINS0_14default_configENS1_22reduce_config_selectorI18summary_stats_dataIfEEEZNS1_11reduce_implILb1ES3_N6thrust23THRUST_200600_302600_NS11hip_rocprim26transform_input_iterator_tIS6_NSA_6detail15normal_iteratorINSA_10device_ptrIfEEEE22summary_stats_unary_opIfEEEPS6_S6_23summary_stats_binary_opIfEEE10hipError_tPvRmT1_T2_T3_mT4_P12ihipStream_tbEUlT_E0_NS1_11comp_targetILNS1_3genE10ELNS1_11target_archE1200ELNS1_3gpuE4ELNS1_3repE0EEENS1_30default_config_static_selectorELNS0_4arch9wavefront6targetE0EEEvSR_,"axG",@progbits,_ZN7rocprim17ROCPRIM_400000_NS6detail17trampoline_kernelINS0_14default_configENS1_22reduce_config_selectorI18summary_stats_dataIfEEEZNS1_11reduce_implILb1ES3_N6thrust23THRUST_200600_302600_NS11hip_rocprim26transform_input_iterator_tIS6_NSA_6detail15normal_iteratorINSA_10device_ptrIfEEEE22summary_stats_unary_opIfEEEPS6_S6_23summary_stats_binary_opIfEEE10hipError_tPvRmT1_T2_T3_mT4_P12ihipStream_tbEUlT_E0_NS1_11comp_targetILNS1_3genE10ELNS1_11target_archE1200ELNS1_3gpuE4ELNS1_3repE0EEENS1_30default_config_static_selectorELNS0_4arch9wavefront6targetE0EEEvSR_,comdat
.Lfunc_end24:
	.size	_ZN7rocprim17ROCPRIM_400000_NS6detail17trampoline_kernelINS0_14default_configENS1_22reduce_config_selectorI18summary_stats_dataIfEEEZNS1_11reduce_implILb1ES3_N6thrust23THRUST_200600_302600_NS11hip_rocprim26transform_input_iterator_tIS6_NSA_6detail15normal_iteratorINSA_10device_ptrIfEEEE22summary_stats_unary_opIfEEEPS6_S6_23summary_stats_binary_opIfEEE10hipError_tPvRmT1_T2_T3_mT4_P12ihipStream_tbEUlT_E0_NS1_11comp_targetILNS1_3genE10ELNS1_11target_archE1200ELNS1_3gpuE4ELNS1_3repE0EEENS1_30default_config_static_selectorELNS0_4arch9wavefront6targetE0EEEvSR_, .Lfunc_end24-_ZN7rocprim17ROCPRIM_400000_NS6detail17trampoline_kernelINS0_14default_configENS1_22reduce_config_selectorI18summary_stats_dataIfEEEZNS1_11reduce_implILb1ES3_N6thrust23THRUST_200600_302600_NS11hip_rocprim26transform_input_iterator_tIS6_NSA_6detail15normal_iteratorINSA_10device_ptrIfEEEE22summary_stats_unary_opIfEEEPS6_S6_23summary_stats_binary_opIfEEE10hipError_tPvRmT1_T2_T3_mT4_P12ihipStream_tbEUlT_E0_NS1_11comp_targetILNS1_3genE10ELNS1_11target_archE1200ELNS1_3gpuE4ELNS1_3repE0EEENS1_30default_config_static_selectorELNS0_4arch9wavefront6targetE0EEEvSR_
                                        ; -- End function
	.set _ZN7rocprim17ROCPRIM_400000_NS6detail17trampoline_kernelINS0_14default_configENS1_22reduce_config_selectorI18summary_stats_dataIfEEEZNS1_11reduce_implILb1ES3_N6thrust23THRUST_200600_302600_NS11hip_rocprim26transform_input_iterator_tIS6_NSA_6detail15normal_iteratorINSA_10device_ptrIfEEEE22summary_stats_unary_opIfEEEPS6_S6_23summary_stats_binary_opIfEEE10hipError_tPvRmT1_T2_T3_mT4_P12ihipStream_tbEUlT_E0_NS1_11comp_targetILNS1_3genE10ELNS1_11target_archE1200ELNS1_3gpuE4ELNS1_3repE0EEENS1_30default_config_static_selectorELNS0_4arch9wavefront6targetE0EEEvSR_.num_vgpr, 0
	.set _ZN7rocprim17ROCPRIM_400000_NS6detail17trampoline_kernelINS0_14default_configENS1_22reduce_config_selectorI18summary_stats_dataIfEEEZNS1_11reduce_implILb1ES3_N6thrust23THRUST_200600_302600_NS11hip_rocprim26transform_input_iterator_tIS6_NSA_6detail15normal_iteratorINSA_10device_ptrIfEEEE22summary_stats_unary_opIfEEEPS6_S6_23summary_stats_binary_opIfEEE10hipError_tPvRmT1_T2_T3_mT4_P12ihipStream_tbEUlT_E0_NS1_11comp_targetILNS1_3genE10ELNS1_11target_archE1200ELNS1_3gpuE4ELNS1_3repE0EEENS1_30default_config_static_selectorELNS0_4arch9wavefront6targetE0EEEvSR_.num_agpr, 0
	.set _ZN7rocprim17ROCPRIM_400000_NS6detail17trampoline_kernelINS0_14default_configENS1_22reduce_config_selectorI18summary_stats_dataIfEEEZNS1_11reduce_implILb1ES3_N6thrust23THRUST_200600_302600_NS11hip_rocprim26transform_input_iterator_tIS6_NSA_6detail15normal_iteratorINSA_10device_ptrIfEEEE22summary_stats_unary_opIfEEEPS6_S6_23summary_stats_binary_opIfEEE10hipError_tPvRmT1_T2_T3_mT4_P12ihipStream_tbEUlT_E0_NS1_11comp_targetILNS1_3genE10ELNS1_11target_archE1200ELNS1_3gpuE4ELNS1_3repE0EEENS1_30default_config_static_selectorELNS0_4arch9wavefront6targetE0EEEvSR_.numbered_sgpr, 0
	.set _ZN7rocprim17ROCPRIM_400000_NS6detail17trampoline_kernelINS0_14default_configENS1_22reduce_config_selectorI18summary_stats_dataIfEEEZNS1_11reduce_implILb1ES3_N6thrust23THRUST_200600_302600_NS11hip_rocprim26transform_input_iterator_tIS6_NSA_6detail15normal_iteratorINSA_10device_ptrIfEEEE22summary_stats_unary_opIfEEEPS6_S6_23summary_stats_binary_opIfEEE10hipError_tPvRmT1_T2_T3_mT4_P12ihipStream_tbEUlT_E0_NS1_11comp_targetILNS1_3genE10ELNS1_11target_archE1200ELNS1_3gpuE4ELNS1_3repE0EEENS1_30default_config_static_selectorELNS0_4arch9wavefront6targetE0EEEvSR_.num_named_barrier, 0
	.set _ZN7rocprim17ROCPRIM_400000_NS6detail17trampoline_kernelINS0_14default_configENS1_22reduce_config_selectorI18summary_stats_dataIfEEEZNS1_11reduce_implILb1ES3_N6thrust23THRUST_200600_302600_NS11hip_rocprim26transform_input_iterator_tIS6_NSA_6detail15normal_iteratorINSA_10device_ptrIfEEEE22summary_stats_unary_opIfEEEPS6_S6_23summary_stats_binary_opIfEEE10hipError_tPvRmT1_T2_T3_mT4_P12ihipStream_tbEUlT_E0_NS1_11comp_targetILNS1_3genE10ELNS1_11target_archE1200ELNS1_3gpuE4ELNS1_3repE0EEENS1_30default_config_static_selectorELNS0_4arch9wavefront6targetE0EEEvSR_.private_seg_size, 0
	.set _ZN7rocprim17ROCPRIM_400000_NS6detail17trampoline_kernelINS0_14default_configENS1_22reduce_config_selectorI18summary_stats_dataIfEEEZNS1_11reduce_implILb1ES3_N6thrust23THRUST_200600_302600_NS11hip_rocprim26transform_input_iterator_tIS6_NSA_6detail15normal_iteratorINSA_10device_ptrIfEEEE22summary_stats_unary_opIfEEEPS6_S6_23summary_stats_binary_opIfEEE10hipError_tPvRmT1_T2_T3_mT4_P12ihipStream_tbEUlT_E0_NS1_11comp_targetILNS1_3genE10ELNS1_11target_archE1200ELNS1_3gpuE4ELNS1_3repE0EEENS1_30default_config_static_selectorELNS0_4arch9wavefront6targetE0EEEvSR_.uses_vcc, 0
	.set _ZN7rocprim17ROCPRIM_400000_NS6detail17trampoline_kernelINS0_14default_configENS1_22reduce_config_selectorI18summary_stats_dataIfEEEZNS1_11reduce_implILb1ES3_N6thrust23THRUST_200600_302600_NS11hip_rocprim26transform_input_iterator_tIS6_NSA_6detail15normal_iteratorINSA_10device_ptrIfEEEE22summary_stats_unary_opIfEEEPS6_S6_23summary_stats_binary_opIfEEE10hipError_tPvRmT1_T2_T3_mT4_P12ihipStream_tbEUlT_E0_NS1_11comp_targetILNS1_3genE10ELNS1_11target_archE1200ELNS1_3gpuE4ELNS1_3repE0EEENS1_30default_config_static_selectorELNS0_4arch9wavefront6targetE0EEEvSR_.uses_flat_scratch, 0
	.set _ZN7rocprim17ROCPRIM_400000_NS6detail17trampoline_kernelINS0_14default_configENS1_22reduce_config_selectorI18summary_stats_dataIfEEEZNS1_11reduce_implILb1ES3_N6thrust23THRUST_200600_302600_NS11hip_rocprim26transform_input_iterator_tIS6_NSA_6detail15normal_iteratorINSA_10device_ptrIfEEEE22summary_stats_unary_opIfEEEPS6_S6_23summary_stats_binary_opIfEEE10hipError_tPvRmT1_T2_T3_mT4_P12ihipStream_tbEUlT_E0_NS1_11comp_targetILNS1_3genE10ELNS1_11target_archE1200ELNS1_3gpuE4ELNS1_3repE0EEENS1_30default_config_static_selectorELNS0_4arch9wavefront6targetE0EEEvSR_.has_dyn_sized_stack, 0
	.set _ZN7rocprim17ROCPRIM_400000_NS6detail17trampoline_kernelINS0_14default_configENS1_22reduce_config_selectorI18summary_stats_dataIfEEEZNS1_11reduce_implILb1ES3_N6thrust23THRUST_200600_302600_NS11hip_rocprim26transform_input_iterator_tIS6_NSA_6detail15normal_iteratorINSA_10device_ptrIfEEEE22summary_stats_unary_opIfEEEPS6_S6_23summary_stats_binary_opIfEEE10hipError_tPvRmT1_T2_T3_mT4_P12ihipStream_tbEUlT_E0_NS1_11comp_targetILNS1_3genE10ELNS1_11target_archE1200ELNS1_3gpuE4ELNS1_3repE0EEENS1_30default_config_static_selectorELNS0_4arch9wavefront6targetE0EEEvSR_.has_recursion, 0
	.set _ZN7rocprim17ROCPRIM_400000_NS6detail17trampoline_kernelINS0_14default_configENS1_22reduce_config_selectorI18summary_stats_dataIfEEEZNS1_11reduce_implILb1ES3_N6thrust23THRUST_200600_302600_NS11hip_rocprim26transform_input_iterator_tIS6_NSA_6detail15normal_iteratorINSA_10device_ptrIfEEEE22summary_stats_unary_opIfEEEPS6_S6_23summary_stats_binary_opIfEEE10hipError_tPvRmT1_T2_T3_mT4_P12ihipStream_tbEUlT_E0_NS1_11comp_targetILNS1_3genE10ELNS1_11target_archE1200ELNS1_3gpuE4ELNS1_3repE0EEENS1_30default_config_static_selectorELNS0_4arch9wavefront6targetE0EEEvSR_.has_indirect_call, 0
	.section	.AMDGPU.csdata,"",@progbits
; Kernel info:
; codeLenInByte = 0
; TotalNumSgprs: 0
; NumVgprs: 0
; ScratchSize: 0
; MemoryBound: 0
; FloatMode: 240
; IeeeMode: 1
; LDSByteSize: 0 bytes/workgroup (compile time only)
; SGPRBlocks: 0
; VGPRBlocks: 0
; NumSGPRsForWavesPerEU: 1
; NumVGPRsForWavesPerEU: 1
; NamedBarCnt: 0
; Occupancy: 16
; WaveLimiterHint : 0
; COMPUTE_PGM_RSRC2:SCRATCH_EN: 0
; COMPUTE_PGM_RSRC2:USER_SGPR: 2
; COMPUTE_PGM_RSRC2:TRAP_HANDLER: 0
; COMPUTE_PGM_RSRC2:TGID_X_EN: 1
; COMPUTE_PGM_RSRC2:TGID_Y_EN: 0
; COMPUTE_PGM_RSRC2:TGID_Z_EN: 0
; COMPUTE_PGM_RSRC2:TIDIG_COMP_CNT: 0
	.section	.text._ZN7rocprim17ROCPRIM_400000_NS6detail17trampoline_kernelINS0_14default_configENS1_22reduce_config_selectorI18summary_stats_dataIfEEEZNS1_11reduce_implILb1ES3_N6thrust23THRUST_200600_302600_NS11hip_rocprim26transform_input_iterator_tIS6_NSA_6detail15normal_iteratorINSA_10device_ptrIfEEEE22summary_stats_unary_opIfEEEPS6_S6_23summary_stats_binary_opIfEEE10hipError_tPvRmT1_T2_T3_mT4_P12ihipStream_tbEUlT_E0_NS1_11comp_targetILNS1_3genE9ELNS1_11target_archE1100ELNS1_3gpuE3ELNS1_3repE0EEENS1_30default_config_static_selectorELNS0_4arch9wavefront6targetE0EEEvSR_,"axG",@progbits,_ZN7rocprim17ROCPRIM_400000_NS6detail17trampoline_kernelINS0_14default_configENS1_22reduce_config_selectorI18summary_stats_dataIfEEEZNS1_11reduce_implILb1ES3_N6thrust23THRUST_200600_302600_NS11hip_rocprim26transform_input_iterator_tIS6_NSA_6detail15normal_iteratorINSA_10device_ptrIfEEEE22summary_stats_unary_opIfEEEPS6_S6_23summary_stats_binary_opIfEEE10hipError_tPvRmT1_T2_T3_mT4_P12ihipStream_tbEUlT_E0_NS1_11comp_targetILNS1_3genE9ELNS1_11target_archE1100ELNS1_3gpuE3ELNS1_3repE0EEENS1_30default_config_static_selectorELNS0_4arch9wavefront6targetE0EEEvSR_,comdat
	.protected	_ZN7rocprim17ROCPRIM_400000_NS6detail17trampoline_kernelINS0_14default_configENS1_22reduce_config_selectorI18summary_stats_dataIfEEEZNS1_11reduce_implILb1ES3_N6thrust23THRUST_200600_302600_NS11hip_rocprim26transform_input_iterator_tIS6_NSA_6detail15normal_iteratorINSA_10device_ptrIfEEEE22summary_stats_unary_opIfEEEPS6_S6_23summary_stats_binary_opIfEEE10hipError_tPvRmT1_T2_T3_mT4_P12ihipStream_tbEUlT_E0_NS1_11comp_targetILNS1_3genE9ELNS1_11target_archE1100ELNS1_3gpuE3ELNS1_3repE0EEENS1_30default_config_static_selectorELNS0_4arch9wavefront6targetE0EEEvSR_ ; -- Begin function _ZN7rocprim17ROCPRIM_400000_NS6detail17trampoline_kernelINS0_14default_configENS1_22reduce_config_selectorI18summary_stats_dataIfEEEZNS1_11reduce_implILb1ES3_N6thrust23THRUST_200600_302600_NS11hip_rocprim26transform_input_iterator_tIS6_NSA_6detail15normal_iteratorINSA_10device_ptrIfEEEE22summary_stats_unary_opIfEEEPS6_S6_23summary_stats_binary_opIfEEE10hipError_tPvRmT1_T2_T3_mT4_P12ihipStream_tbEUlT_E0_NS1_11comp_targetILNS1_3genE9ELNS1_11target_archE1100ELNS1_3gpuE3ELNS1_3repE0EEENS1_30default_config_static_selectorELNS0_4arch9wavefront6targetE0EEEvSR_
	.globl	_ZN7rocprim17ROCPRIM_400000_NS6detail17trampoline_kernelINS0_14default_configENS1_22reduce_config_selectorI18summary_stats_dataIfEEEZNS1_11reduce_implILb1ES3_N6thrust23THRUST_200600_302600_NS11hip_rocprim26transform_input_iterator_tIS6_NSA_6detail15normal_iteratorINSA_10device_ptrIfEEEE22summary_stats_unary_opIfEEEPS6_S6_23summary_stats_binary_opIfEEE10hipError_tPvRmT1_T2_T3_mT4_P12ihipStream_tbEUlT_E0_NS1_11comp_targetILNS1_3genE9ELNS1_11target_archE1100ELNS1_3gpuE3ELNS1_3repE0EEENS1_30default_config_static_selectorELNS0_4arch9wavefront6targetE0EEEvSR_
	.p2align	8
	.type	_ZN7rocprim17ROCPRIM_400000_NS6detail17trampoline_kernelINS0_14default_configENS1_22reduce_config_selectorI18summary_stats_dataIfEEEZNS1_11reduce_implILb1ES3_N6thrust23THRUST_200600_302600_NS11hip_rocprim26transform_input_iterator_tIS6_NSA_6detail15normal_iteratorINSA_10device_ptrIfEEEE22summary_stats_unary_opIfEEEPS6_S6_23summary_stats_binary_opIfEEE10hipError_tPvRmT1_T2_T3_mT4_P12ihipStream_tbEUlT_E0_NS1_11comp_targetILNS1_3genE9ELNS1_11target_archE1100ELNS1_3gpuE3ELNS1_3repE0EEENS1_30default_config_static_selectorELNS0_4arch9wavefront6targetE0EEEvSR_,@function
_ZN7rocprim17ROCPRIM_400000_NS6detail17trampoline_kernelINS0_14default_configENS1_22reduce_config_selectorI18summary_stats_dataIfEEEZNS1_11reduce_implILb1ES3_N6thrust23THRUST_200600_302600_NS11hip_rocprim26transform_input_iterator_tIS6_NSA_6detail15normal_iteratorINSA_10device_ptrIfEEEE22summary_stats_unary_opIfEEEPS6_S6_23summary_stats_binary_opIfEEE10hipError_tPvRmT1_T2_T3_mT4_P12ihipStream_tbEUlT_E0_NS1_11comp_targetILNS1_3genE9ELNS1_11target_archE1100ELNS1_3gpuE3ELNS1_3repE0EEENS1_30default_config_static_selectorELNS0_4arch9wavefront6targetE0EEEvSR_: ; @_ZN7rocprim17ROCPRIM_400000_NS6detail17trampoline_kernelINS0_14default_configENS1_22reduce_config_selectorI18summary_stats_dataIfEEEZNS1_11reduce_implILb1ES3_N6thrust23THRUST_200600_302600_NS11hip_rocprim26transform_input_iterator_tIS6_NSA_6detail15normal_iteratorINSA_10device_ptrIfEEEE22summary_stats_unary_opIfEEEPS6_S6_23summary_stats_binary_opIfEEE10hipError_tPvRmT1_T2_T3_mT4_P12ihipStream_tbEUlT_E0_NS1_11comp_targetILNS1_3genE9ELNS1_11target_archE1100ELNS1_3gpuE3ELNS1_3repE0EEENS1_30default_config_static_selectorELNS0_4arch9wavefront6targetE0EEEvSR_
; %bb.0:
	.section	.rodata,"a",@progbits
	.p2align	6, 0x0
	.amdhsa_kernel _ZN7rocprim17ROCPRIM_400000_NS6detail17trampoline_kernelINS0_14default_configENS1_22reduce_config_selectorI18summary_stats_dataIfEEEZNS1_11reduce_implILb1ES3_N6thrust23THRUST_200600_302600_NS11hip_rocprim26transform_input_iterator_tIS6_NSA_6detail15normal_iteratorINSA_10device_ptrIfEEEE22summary_stats_unary_opIfEEEPS6_S6_23summary_stats_binary_opIfEEE10hipError_tPvRmT1_T2_T3_mT4_P12ihipStream_tbEUlT_E0_NS1_11comp_targetILNS1_3genE9ELNS1_11target_archE1100ELNS1_3gpuE3ELNS1_3repE0EEENS1_30default_config_static_selectorELNS0_4arch9wavefront6targetE0EEEvSR_
		.amdhsa_group_segment_fixed_size 0
		.amdhsa_private_segment_fixed_size 0
		.amdhsa_kernarg_size 88
		.amdhsa_user_sgpr_count 2
		.amdhsa_user_sgpr_dispatch_ptr 0
		.amdhsa_user_sgpr_queue_ptr 0
		.amdhsa_user_sgpr_kernarg_segment_ptr 1
		.amdhsa_user_sgpr_dispatch_id 0
		.amdhsa_user_sgpr_kernarg_preload_length 0
		.amdhsa_user_sgpr_kernarg_preload_offset 0
		.amdhsa_user_sgpr_private_segment_size 0
		.amdhsa_wavefront_size32 1
		.amdhsa_uses_dynamic_stack 0
		.amdhsa_enable_private_segment 0
		.amdhsa_system_sgpr_workgroup_id_x 1
		.amdhsa_system_sgpr_workgroup_id_y 0
		.amdhsa_system_sgpr_workgroup_id_z 0
		.amdhsa_system_sgpr_workgroup_info 0
		.amdhsa_system_vgpr_workitem_id 0
		.amdhsa_next_free_vgpr 1
		.amdhsa_next_free_sgpr 1
		.amdhsa_named_barrier_count 0
		.amdhsa_reserve_vcc 0
		.amdhsa_float_round_mode_32 0
		.amdhsa_float_round_mode_16_64 0
		.amdhsa_float_denorm_mode_32 3
		.amdhsa_float_denorm_mode_16_64 3
		.amdhsa_fp16_overflow 0
		.amdhsa_memory_ordered 1
		.amdhsa_forward_progress 1
		.amdhsa_inst_pref_size 0
		.amdhsa_round_robin_scheduling 0
		.amdhsa_exception_fp_ieee_invalid_op 0
		.amdhsa_exception_fp_denorm_src 0
		.amdhsa_exception_fp_ieee_div_zero 0
		.amdhsa_exception_fp_ieee_overflow 0
		.amdhsa_exception_fp_ieee_underflow 0
		.amdhsa_exception_fp_ieee_inexact 0
		.amdhsa_exception_int_div_zero 0
	.end_amdhsa_kernel
	.section	.text._ZN7rocprim17ROCPRIM_400000_NS6detail17trampoline_kernelINS0_14default_configENS1_22reduce_config_selectorI18summary_stats_dataIfEEEZNS1_11reduce_implILb1ES3_N6thrust23THRUST_200600_302600_NS11hip_rocprim26transform_input_iterator_tIS6_NSA_6detail15normal_iteratorINSA_10device_ptrIfEEEE22summary_stats_unary_opIfEEEPS6_S6_23summary_stats_binary_opIfEEE10hipError_tPvRmT1_T2_T3_mT4_P12ihipStream_tbEUlT_E0_NS1_11comp_targetILNS1_3genE9ELNS1_11target_archE1100ELNS1_3gpuE3ELNS1_3repE0EEENS1_30default_config_static_selectorELNS0_4arch9wavefront6targetE0EEEvSR_,"axG",@progbits,_ZN7rocprim17ROCPRIM_400000_NS6detail17trampoline_kernelINS0_14default_configENS1_22reduce_config_selectorI18summary_stats_dataIfEEEZNS1_11reduce_implILb1ES3_N6thrust23THRUST_200600_302600_NS11hip_rocprim26transform_input_iterator_tIS6_NSA_6detail15normal_iteratorINSA_10device_ptrIfEEEE22summary_stats_unary_opIfEEEPS6_S6_23summary_stats_binary_opIfEEE10hipError_tPvRmT1_T2_T3_mT4_P12ihipStream_tbEUlT_E0_NS1_11comp_targetILNS1_3genE9ELNS1_11target_archE1100ELNS1_3gpuE3ELNS1_3repE0EEENS1_30default_config_static_selectorELNS0_4arch9wavefront6targetE0EEEvSR_,comdat
.Lfunc_end25:
	.size	_ZN7rocprim17ROCPRIM_400000_NS6detail17trampoline_kernelINS0_14default_configENS1_22reduce_config_selectorI18summary_stats_dataIfEEEZNS1_11reduce_implILb1ES3_N6thrust23THRUST_200600_302600_NS11hip_rocprim26transform_input_iterator_tIS6_NSA_6detail15normal_iteratorINSA_10device_ptrIfEEEE22summary_stats_unary_opIfEEEPS6_S6_23summary_stats_binary_opIfEEE10hipError_tPvRmT1_T2_T3_mT4_P12ihipStream_tbEUlT_E0_NS1_11comp_targetILNS1_3genE9ELNS1_11target_archE1100ELNS1_3gpuE3ELNS1_3repE0EEENS1_30default_config_static_selectorELNS0_4arch9wavefront6targetE0EEEvSR_, .Lfunc_end25-_ZN7rocprim17ROCPRIM_400000_NS6detail17trampoline_kernelINS0_14default_configENS1_22reduce_config_selectorI18summary_stats_dataIfEEEZNS1_11reduce_implILb1ES3_N6thrust23THRUST_200600_302600_NS11hip_rocprim26transform_input_iterator_tIS6_NSA_6detail15normal_iteratorINSA_10device_ptrIfEEEE22summary_stats_unary_opIfEEEPS6_S6_23summary_stats_binary_opIfEEE10hipError_tPvRmT1_T2_T3_mT4_P12ihipStream_tbEUlT_E0_NS1_11comp_targetILNS1_3genE9ELNS1_11target_archE1100ELNS1_3gpuE3ELNS1_3repE0EEENS1_30default_config_static_selectorELNS0_4arch9wavefront6targetE0EEEvSR_
                                        ; -- End function
	.set _ZN7rocprim17ROCPRIM_400000_NS6detail17trampoline_kernelINS0_14default_configENS1_22reduce_config_selectorI18summary_stats_dataIfEEEZNS1_11reduce_implILb1ES3_N6thrust23THRUST_200600_302600_NS11hip_rocprim26transform_input_iterator_tIS6_NSA_6detail15normal_iteratorINSA_10device_ptrIfEEEE22summary_stats_unary_opIfEEEPS6_S6_23summary_stats_binary_opIfEEE10hipError_tPvRmT1_T2_T3_mT4_P12ihipStream_tbEUlT_E0_NS1_11comp_targetILNS1_3genE9ELNS1_11target_archE1100ELNS1_3gpuE3ELNS1_3repE0EEENS1_30default_config_static_selectorELNS0_4arch9wavefront6targetE0EEEvSR_.num_vgpr, 0
	.set _ZN7rocprim17ROCPRIM_400000_NS6detail17trampoline_kernelINS0_14default_configENS1_22reduce_config_selectorI18summary_stats_dataIfEEEZNS1_11reduce_implILb1ES3_N6thrust23THRUST_200600_302600_NS11hip_rocprim26transform_input_iterator_tIS6_NSA_6detail15normal_iteratorINSA_10device_ptrIfEEEE22summary_stats_unary_opIfEEEPS6_S6_23summary_stats_binary_opIfEEE10hipError_tPvRmT1_T2_T3_mT4_P12ihipStream_tbEUlT_E0_NS1_11comp_targetILNS1_3genE9ELNS1_11target_archE1100ELNS1_3gpuE3ELNS1_3repE0EEENS1_30default_config_static_selectorELNS0_4arch9wavefront6targetE0EEEvSR_.num_agpr, 0
	.set _ZN7rocprim17ROCPRIM_400000_NS6detail17trampoline_kernelINS0_14default_configENS1_22reduce_config_selectorI18summary_stats_dataIfEEEZNS1_11reduce_implILb1ES3_N6thrust23THRUST_200600_302600_NS11hip_rocprim26transform_input_iterator_tIS6_NSA_6detail15normal_iteratorINSA_10device_ptrIfEEEE22summary_stats_unary_opIfEEEPS6_S6_23summary_stats_binary_opIfEEE10hipError_tPvRmT1_T2_T3_mT4_P12ihipStream_tbEUlT_E0_NS1_11comp_targetILNS1_3genE9ELNS1_11target_archE1100ELNS1_3gpuE3ELNS1_3repE0EEENS1_30default_config_static_selectorELNS0_4arch9wavefront6targetE0EEEvSR_.numbered_sgpr, 0
	.set _ZN7rocprim17ROCPRIM_400000_NS6detail17trampoline_kernelINS0_14default_configENS1_22reduce_config_selectorI18summary_stats_dataIfEEEZNS1_11reduce_implILb1ES3_N6thrust23THRUST_200600_302600_NS11hip_rocprim26transform_input_iterator_tIS6_NSA_6detail15normal_iteratorINSA_10device_ptrIfEEEE22summary_stats_unary_opIfEEEPS6_S6_23summary_stats_binary_opIfEEE10hipError_tPvRmT1_T2_T3_mT4_P12ihipStream_tbEUlT_E0_NS1_11comp_targetILNS1_3genE9ELNS1_11target_archE1100ELNS1_3gpuE3ELNS1_3repE0EEENS1_30default_config_static_selectorELNS0_4arch9wavefront6targetE0EEEvSR_.num_named_barrier, 0
	.set _ZN7rocprim17ROCPRIM_400000_NS6detail17trampoline_kernelINS0_14default_configENS1_22reduce_config_selectorI18summary_stats_dataIfEEEZNS1_11reduce_implILb1ES3_N6thrust23THRUST_200600_302600_NS11hip_rocprim26transform_input_iterator_tIS6_NSA_6detail15normal_iteratorINSA_10device_ptrIfEEEE22summary_stats_unary_opIfEEEPS6_S6_23summary_stats_binary_opIfEEE10hipError_tPvRmT1_T2_T3_mT4_P12ihipStream_tbEUlT_E0_NS1_11comp_targetILNS1_3genE9ELNS1_11target_archE1100ELNS1_3gpuE3ELNS1_3repE0EEENS1_30default_config_static_selectorELNS0_4arch9wavefront6targetE0EEEvSR_.private_seg_size, 0
	.set _ZN7rocprim17ROCPRIM_400000_NS6detail17trampoline_kernelINS0_14default_configENS1_22reduce_config_selectorI18summary_stats_dataIfEEEZNS1_11reduce_implILb1ES3_N6thrust23THRUST_200600_302600_NS11hip_rocprim26transform_input_iterator_tIS6_NSA_6detail15normal_iteratorINSA_10device_ptrIfEEEE22summary_stats_unary_opIfEEEPS6_S6_23summary_stats_binary_opIfEEE10hipError_tPvRmT1_T2_T3_mT4_P12ihipStream_tbEUlT_E0_NS1_11comp_targetILNS1_3genE9ELNS1_11target_archE1100ELNS1_3gpuE3ELNS1_3repE0EEENS1_30default_config_static_selectorELNS0_4arch9wavefront6targetE0EEEvSR_.uses_vcc, 0
	.set _ZN7rocprim17ROCPRIM_400000_NS6detail17trampoline_kernelINS0_14default_configENS1_22reduce_config_selectorI18summary_stats_dataIfEEEZNS1_11reduce_implILb1ES3_N6thrust23THRUST_200600_302600_NS11hip_rocprim26transform_input_iterator_tIS6_NSA_6detail15normal_iteratorINSA_10device_ptrIfEEEE22summary_stats_unary_opIfEEEPS6_S6_23summary_stats_binary_opIfEEE10hipError_tPvRmT1_T2_T3_mT4_P12ihipStream_tbEUlT_E0_NS1_11comp_targetILNS1_3genE9ELNS1_11target_archE1100ELNS1_3gpuE3ELNS1_3repE0EEENS1_30default_config_static_selectorELNS0_4arch9wavefront6targetE0EEEvSR_.uses_flat_scratch, 0
	.set _ZN7rocprim17ROCPRIM_400000_NS6detail17trampoline_kernelINS0_14default_configENS1_22reduce_config_selectorI18summary_stats_dataIfEEEZNS1_11reduce_implILb1ES3_N6thrust23THRUST_200600_302600_NS11hip_rocprim26transform_input_iterator_tIS6_NSA_6detail15normal_iteratorINSA_10device_ptrIfEEEE22summary_stats_unary_opIfEEEPS6_S6_23summary_stats_binary_opIfEEE10hipError_tPvRmT1_T2_T3_mT4_P12ihipStream_tbEUlT_E0_NS1_11comp_targetILNS1_3genE9ELNS1_11target_archE1100ELNS1_3gpuE3ELNS1_3repE0EEENS1_30default_config_static_selectorELNS0_4arch9wavefront6targetE0EEEvSR_.has_dyn_sized_stack, 0
	.set _ZN7rocprim17ROCPRIM_400000_NS6detail17trampoline_kernelINS0_14default_configENS1_22reduce_config_selectorI18summary_stats_dataIfEEEZNS1_11reduce_implILb1ES3_N6thrust23THRUST_200600_302600_NS11hip_rocprim26transform_input_iterator_tIS6_NSA_6detail15normal_iteratorINSA_10device_ptrIfEEEE22summary_stats_unary_opIfEEEPS6_S6_23summary_stats_binary_opIfEEE10hipError_tPvRmT1_T2_T3_mT4_P12ihipStream_tbEUlT_E0_NS1_11comp_targetILNS1_3genE9ELNS1_11target_archE1100ELNS1_3gpuE3ELNS1_3repE0EEENS1_30default_config_static_selectorELNS0_4arch9wavefront6targetE0EEEvSR_.has_recursion, 0
	.set _ZN7rocprim17ROCPRIM_400000_NS6detail17trampoline_kernelINS0_14default_configENS1_22reduce_config_selectorI18summary_stats_dataIfEEEZNS1_11reduce_implILb1ES3_N6thrust23THRUST_200600_302600_NS11hip_rocprim26transform_input_iterator_tIS6_NSA_6detail15normal_iteratorINSA_10device_ptrIfEEEE22summary_stats_unary_opIfEEEPS6_S6_23summary_stats_binary_opIfEEE10hipError_tPvRmT1_T2_T3_mT4_P12ihipStream_tbEUlT_E0_NS1_11comp_targetILNS1_3genE9ELNS1_11target_archE1100ELNS1_3gpuE3ELNS1_3repE0EEENS1_30default_config_static_selectorELNS0_4arch9wavefront6targetE0EEEvSR_.has_indirect_call, 0
	.section	.AMDGPU.csdata,"",@progbits
; Kernel info:
; codeLenInByte = 0
; TotalNumSgprs: 0
; NumVgprs: 0
; ScratchSize: 0
; MemoryBound: 0
; FloatMode: 240
; IeeeMode: 1
; LDSByteSize: 0 bytes/workgroup (compile time only)
; SGPRBlocks: 0
; VGPRBlocks: 0
; NumSGPRsForWavesPerEU: 1
; NumVGPRsForWavesPerEU: 1
; NamedBarCnt: 0
; Occupancy: 16
; WaveLimiterHint : 0
; COMPUTE_PGM_RSRC2:SCRATCH_EN: 0
; COMPUTE_PGM_RSRC2:USER_SGPR: 2
; COMPUTE_PGM_RSRC2:TRAP_HANDLER: 0
; COMPUTE_PGM_RSRC2:TGID_X_EN: 1
; COMPUTE_PGM_RSRC2:TGID_Y_EN: 0
; COMPUTE_PGM_RSRC2:TGID_Z_EN: 0
; COMPUTE_PGM_RSRC2:TIDIG_COMP_CNT: 0
	.section	.text._ZN7rocprim17ROCPRIM_400000_NS6detail17trampoline_kernelINS0_14default_configENS1_22reduce_config_selectorI18summary_stats_dataIfEEEZNS1_11reduce_implILb1ES3_N6thrust23THRUST_200600_302600_NS11hip_rocprim26transform_input_iterator_tIS6_NSA_6detail15normal_iteratorINSA_10device_ptrIfEEEE22summary_stats_unary_opIfEEEPS6_S6_23summary_stats_binary_opIfEEE10hipError_tPvRmT1_T2_T3_mT4_P12ihipStream_tbEUlT_E0_NS1_11comp_targetILNS1_3genE8ELNS1_11target_archE1030ELNS1_3gpuE2ELNS1_3repE0EEENS1_30default_config_static_selectorELNS0_4arch9wavefront6targetE0EEEvSR_,"axG",@progbits,_ZN7rocprim17ROCPRIM_400000_NS6detail17trampoline_kernelINS0_14default_configENS1_22reduce_config_selectorI18summary_stats_dataIfEEEZNS1_11reduce_implILb1ES3_N6thrust23THRUST_200600_302600_NS11hip_rocprim26transform_input_iterator_tIS6_NSA_6detail15normal_iteratorINSA_10device_ptrIfEEEE22summary_stats_unary_opIfEEEPS6_S6_23summary_stats_binary_opIfEEE10hipError_tPvRmT1_T2_T3_mT4_P12ihipStream_tbEUlT_E0_NS1_11comp_targetILNS1_3genE8ELNS1_11target_archE1030ELNS1_3gpuE2ELNS1_3repE0EEENS1_30default_config_static_selectorELNS0_4arch9wavefront6targetE0EEEvSR_,comdat
	.protected	_ZN7rocprim17ROCPRIM_400000_NS6detail17trampoline_kernelINS0_14default_configENS1_22reduce_config_selectorI18summary_stats_dataIfEEEZNS1_11reduce_implILb1ES3_N6thrust23THRUST_200600_302600_NS11hip_rocprim26transform_input_iterator_tIS6_NSA_6detail15normal_iteratorINSA_10device_ptrIfEEEE22summary_stats_unary_opIfEEEPS6_S6_23summary_stats_binary_opIfEEE10hipError_tPvRmT1_T2_T3_mT4_P12ihipStream_tbEUlT_E0_NS1_11comp_targetILNS1_3genE8ELNS1_11target_archE1030ELNS1_3gpuE2ELNS1_3repE0EEENS1_30default_config_static_selectorELNS0_4arch9wavefront6targetE0EEEvSR_ ; -- Begin function _ZN7rocprim17ROCPRIM_400000_NS6detail17trampoline_kernelINS0_14default_configENS1_22reduce_config_selectorI18summary_stats_dataIfEEEZNS1_11reduce_implILb1ES3_N6thrust23THRUST_200600_302600_NS11hip_rocprim26transform_input_iterator_tIS6_NSA_6detail15normal_iteratorINSA_10device_ptrIfEEEE22summary_stats_unary_opIfEEEPS6_S6_23summary_stats_binary_opIfEEE10hipError_tPvRmT1_T2_T3_mT4_P12ihipStream_tbEUlT_E0_NS1_11comp_targetILNS1_3genE8ELNS1_11target_archE1030ELNS1_3gpuE2ELNS1_3repE0EEENS1_30default_config_static_selectorELNS0_4arch9wavefront6targetE0EEEvSR_
	.globl	_ZN7rocprim17ROCPRIM_400000_NS6detail17trampoline_kernelINS0_14default_configENS1_22reduce_config_selectorI18summary_stats_dataIfEEEZNS1_11reduce_implILb1ES3_N6thrust23THRUST_200600_302600_NS11hip_rocprim26transform_input_iterator_tIS6_NSA_6detail15normal_iteratorINSA_10device_ptrIfEEEE22summary_stats_unary_opIfEEEPS6_S6_23summary_stats_binary_opIfEEE10hipError_tPvRmT1_T2_T3_mT4_P12ihipStream_tbEUlT_E0_NS1_11comp_targetILNS1_3genE8ELNS1_11target_archE1030ELNS1_3gpuE2ELNS1_3repE0EEENS1_30default_config_static_selectorELNS0_4arch9wavefront6targetE0EEEvSR_
	.p2align	8
	.type	_ZN7rocprim17ROCPRIM_400000_NS6detail17trampoline_kernelINS0_14default_configENS1_22reduce_config_selectorI18summary_stats_dataIfEEEZNS1_11reduce_implILb1ES3_N6thrust23THRUST_200600_302600_NS11hip_rocprim26transform_input_iterator_tIS6_NSA_6detail15normal_iteratorINSA_10device_ptrIfEEEE22summary_stats_unary_opIfEEEPS6_S6_23summary_stats_binary_opIfEEE10hipError_tPvRmT1_T2_T3_mT4_P12ihipStream_tbEUlT_E0_NS1_11comp_targetILNS1_3genE8ELNS1_11target_archE1030ELNS1_3gpuE2ELNS1_3repE0EEENS1_30default_config_static_selectorELNS0_4arch9wavefront6targetE0EEEvSR_,@function
_ZN7rocprim17ROCPRIM_400000_NS6detail17trampoline_kernelINS0_14default_configENS1_22reduce_config_selectorI18summary_stats_dataIfEEEZNS1_11reduce_implILb1ES3_N6thrust23THRUST_200600_302600_NS11hip_rocprim26transform_input_iterator_tIS6_NSA_6detail15normal_iteratorINSA_10device_ptrIfEEEE22summary_stats_unary_opIfEEEPS6_S6_23summary_stats_binary_opIfEEE10hipError_tPvRmT1_T2_T3_mT4_P12ihipStream_tbEUlT_E0_NS1_11comp_targetILNS1_3genE8ELNS1_11target_archE1030ELNS1_3gpuE2ELNS1_3repE0EEENS1_30default_config_static_selectorELNS0_4arch9wavefront6targetE0EEEvSR_: ; @_ZN7rocprim17ROCPRIM_400000_NS6detail17trampoline_kernelINS0_14default_configENS1_22reduce_config_selectorI18summary_stats_dataIfEEEZNS1_11reduce_implILb1ES3_N6thrust23THRUST_200600_302600_NS11hip_rocprim26transform_input_iterator_tIS6_NSA_6detail15normal_iteratorINSA_10device_ptrIfEEEE22summary_stats_unary_opIfEEEPS6_S6_23summary_stats_binary_opIfEEE10hipError_tPvRmT1_T2_T3_mT4_P12ihipStream_tbEUlT_E0_NS1_11comp_targetILNS1_3genE8ELNS1_11target_archE1030ELNS1_3gpuE2ELNS1_3repE0EEENS1_30default_config_static_selectorELNS0_4arch9wavefront6targetE0EEEvSR_
; %bb.0:
	.section	.rodata,"a",@progbits
	.p2align	6, 0x0
	.amdhsa_kernel _ZN7rocprim17ROCPRIM_400000_NS6detail17trampoline_kernelINS0_14default_configENS1_22reduce_config_selectorI18summary_stats_dataIfEEEZNS1_11reduce_implILb1ES3_N6thrust23THRUST_200600_302600_NS11hip_rocprim26transform_input_iterator_tIS6_NSA_6detail15normal_iteratorINSA_10device_ptrIfEEEE22summary_stats_unary_opIfEEEPS6_S6_23summary_stats_binary_opIfEEE10hipError_tPvRmT1_T2_T3_mT4_P12ihipStream_tbEUlT_E0_NS1_11comp_targetILNS1_3genE8ELNS1_11target_archE1030ELNS1_3gpuE2ELNS1_3repE0EEENS1_30default_config_static_selectorELNS0_4arch9wavefront6targetE0EEEvSR_
		.amdhsa_group_segment_fixed_size 0
		.amdhsa_private_segment_fixed_size 0
		.amdhsa_kernarg_size 88
		.amdhsa_user_sgpr_count 2
		.amdhsa_user_sgpr_dispatch_ptr 0
		.amdhsa_user_sgpr_queue_ptr 0
		.amdhsa_user_sgpr_kernarg_segment_ptr 1
		.amdhsa_user_sgpr_dispatch_id 0
		.amdhsa_user_sgpr_kernarg_preload_length 0
		.amdhsa_user_sgpr_kernarg_preload_offset 0
		.amdhsa_user_sgpr_private_segment_size 0
		.amdhsa_wavefront_size32 1
		.amdhsa_uses_dynamic_stack 0
		.amdhsa_enable_private_segment 0
		.amdhsa_system_sgpr_workgroup_id_x 1
		.amdhsa_system_sgpr_workgroup_id_y 0
		.amdhsa_system_sgpr_workgroup_id_z 0
		.amdhsa_system_sgpr_workgroup_info 0
		.amdhsa_system_vgpr_workitem_id 0
		.amdhsa_next_free_vgpr 1
		.amdhsa_next_free_sgpr 1
		.amdhsa_named_barrier_count 0
		.amdhsa_reserve_vcc 0
		.amdhsa_float_round_mode_32 0
		.amdhsa_float_round_mode_16_64 0
		.amdhsa_float_denorm_mode_32 3
		.amdhsa_float_denorm_mode_16_64 3
		.amdhsa_fp16_overflow 0
		.amdhsa_memory_ordered 1
		.amdhsa_forward_progress 1
		.amdhsa_inst_pref_size 0
		.amdhsa_round_robin_scheduling 0
		.amdhsa_exception_fp_ieee_invalid_op 0
		.amdhsa_exception_fp_denorm_src 0
		.amdhsa_exception_fp_ieee_div_zero 0
		.amdhsa_exception_fp_ieee_overflow 0
		.amdhsa_exception_fp_ieee_underflow 0
		.amdhsa_exception_fp_ieee_inexact 0
		.amdhsa_exception_int_div_zero 0
	.end_amdhsa_kernel
	.section	.text._ZN7rocprim17ROCPRIM_400000_NS6detail17trampoline_kernelINS0_14default_configENS1_22reduce_config_selectorI18summary_stats_dataIfEEEZNS1_11reduce_implILb1ES3_N6thrust23THRUST_200600_302600_NS11hip_rocprim26transform_input_iterator_tIS6_NSA_6detail15normal_iteratorINSA_10device_ptrIfEEEE22summary_stats_unary_opIfEEEPS6_S6_23summary_stats_binary_opIfEEE10hipError_tPvRmT1_T2_T3_mT4_P12ihipStream_tbEUlT_E0_NS1_11comp_targetILNS1_3genE8ELNS1_11target_archE1030ELNS1_3gpuE2ELNS1_3repE0EEENS1_30default_config_static_selectorELNS0_4arch9wavefront6targetE0EEEvSR_,"axG",@progbits,_ZN7rocprim17ROCPRIM_400000_NS6detail17trampoline_kernelINS0_14default_configENS1_22reduce_config_selectorI18summary_stats_dataIfEEEZNS1_11reduce_implILb1ES3_N6thrust23THRUST_200600_302600_NS11hip_rocprim26transform_input_iterator_tIS6_NSA_6detail15normal_iteratorINSA_10device_ptrIfEEEE22summary_stats_unary_opIfEEEPS6_S6_23summary_stats_binary_opIfEEE10hipError_tPvRmT1_T2_T3_mT4_P12ihipStream_tbEUlT_E0_NS1_11comp_targetILNS1_3genE8ELNS1_11target_archE1030ELNS1_3gpuE2ELNS1_3repE0EEENS1_30default_config_static_selectorELNS0_4arch9wavefront6targetE0EEEvSR_,comdat
.Lfunc_end26:
	.size	_ZN7rocprim17ROCPRIM_400000_NS6detail17trampoline_kernelINS0_14default_configENS1_22reduce_config_selectorI18summary_stats_dataIfEEEZNS1_11reduce_implILb1ES3_N6thrust23THRUST_200600_302600_NS11hip_rocprim26transform_input_iterator_tIS6_NSA_6detail15normal_iteratorINSA_10device_ptrIfEEEE22summary_stats_unary_opIfEEEPS6_S6_23summary_stats_binary_opIfEEE10hipError_tPvRmT1_T2_T3_mT4_P12ihipStream_tbEUlT_E0_NS1_11comp_targetILNS1_3genE8ELNS1_11target_archE1030ELNS1_3gpuE2ELNS1_3repE0EEENS1_30default_config_static_selectorELNS0_4arch9wavefront6targetE0EEEvSR_, .Lfunc_end26-_ZN7rocprim17ROCPRIM_400000_NS6detail17trampoline_kernelINS0_14default_configENS1_22reduce_config_selectorI18summary_stats_dataIfEEEZNS1_11reduce_implILb1ES3_N6thrust23THRUST_200600_302600_NS11hip_rocprim26transform_input_iterator_tIS6_NSA_6detail15normal_iteratorINSA_10device_ptrIfEEEE22summary_stats_unary_opIfEEEPS6_S6_23summary_stats_binary_opIfEEE10hipError_tPvRmT1_T2_T3_mT4_P12ihipStream_tbEUlT_E0_NS1_11comp_targetILNS1_3genE8ELNS1_11target_archE1030ELNS1_3gpuE2ELNS1_3repE0EEENS1_30default_config_static_selectorELNS0_4arch9wavefront6targetE0EEEvSR_
                                        ; -- End function
	.set _ZN7rocprim17ROCPRIM_400000_NS6detail17trampoline_kernelINS0_14default_configENS1_22reduce_config_selectorI18summary_stats_dataIfEEEZNS1_11reduce_implILb1ES3_N6thrust23THRUST_200600_302600_NS11hip_rocprim26transform_input_iterator_tIS6_NSA_6detail15normal_iteratorINSA_10device_ptrIfEEEE22summary_stats_unary_opIfEEEPS6_S6_23summary_stats_binary_opIfEEE10hipError_tPvRmT1_T2_T3_mT4_P12ihipStream_tbEUlT_E0_NS1_11comp_targetILNS1_3genE8ELNS1_11target_archE1030ELNS1_3gpuE2ELNS1_3repE0EEENS1_30default_config_static_selectorELNS0_4arch9wavefront6targetE0EEEvSR_.num_vgpr, 0
	.set _ZN7rocprim17ROCPRIM_400000_NS6detail17trampoline_kernelINS0_14default_configENS1_22reduce_config_selectorI18summary_stats_dataIfEEEZNS1_11reduce_implILb1ES3_N6thrust23THRUST_200600_302600_NS11hip_rocprim26transform_input_iterator_tIS6_NSA_6detail15normal_iteratorINSA_10device_ptrIfEEEE22summary_stats_unary_opIfEEEPS6_S6_23summary_stats_binary_opIfEEE10hipError_tPvRmT1_T2_T3_mT4_P12ihipStream_tbEUlT_E0_NS1_11comp_targetILNS1_3genE8ELNS1_11target_archE1030ELNS1_3gpuE2ELNS1_3repE0EEENS1_30default_config_static_selectorELNS0_4arch9wavefront6targetE0EEEvSR_.num_agpr, 0
	.set _ZN7rocprim17ROCPRIM_400000_NS6detail17trampoline_kernelINS0_14default_configENS1_22reduce_config_selectorI18summary_stats_dataIfEEEZNS1_11reduce_implILb1ES3_N6thrust23THRUST_200600_302600_NS11hip_rocprim26transform_input_iterator_tIS6_NSA_6detail15normal_iteratorINSA_10device_ptrIfEEEE22summary_stats_unary_opIfEEEPS6_S6_23summary_stats_binary_opIfEEE10hipError_tPvRmT1_T2_T3_mT4_P12ihipStream_tbEUlT_E0_NS1_11comp_targetILNS1_3genE8ELNS1_11target_archE1030ELNS1_3gpuE2ELNS1_3repE0EEENS1_30default_config_static_selectorELNS0_4arch9wavefront6targetE0EEEvSR_.numbered_sgpr, 0
	.set _ZN7rocprim17ROCPRIM_400000_NS6detail17trampoline_kernelINS0_14default_configENS1_22reduce_config_selectorI18summary_stats_dataIfEEEZNS1_11reduce_implILb1ES3_N6thrust23THRUST_200600_302600_NS11hip_rocprim26transform_input_iterator_tIS6_NSA_6detail15normal_iteratorINSA_10device_ptrIfEEEE22summary_stats_unary_opIfEEEPS6_S6_23summary_stats_binary_opIfEEE10hipError_tPvRmT1_T2_T3_mT4_P12ihipStream_tbEUlT_E0_NS1_11comp_targetILNS1_3genE8ELNS1_11target_archE1030ELNS1_3gpuE2ELNS1_3repE0EEENS1_30default_config_static_selectorELNS0_4arch9wavefront6targetE0EEEvSR_.num_named_barrier, 0
	.set _ZN7rocprim17ROCPRIM_400000_NS6detail17trampoline_kernelINS0_14default_configENS1_22reduce_config_selectorI18summary_stats_dataIfEEEZNS1_11reduce_implILb1ES3_N6thrust23THRUST_200600_302600_NS11hip_rocprim26transform_input_iterator_tIS6_NSA_6detail15normal_iteratorINSA_10device_ptrIfEEEE22summary_stats_unary_opIfEEEPS6_S6_23summary_stats_binary_opIfEEE10hipError_tPvRmT1_T2_T3_mT4_P12ihipStream_tbEUlT_E0_NS1_11comp_targetILNS1_3genE8ELNS1_11target_archE1030ELNS1_3gpuE2ELNS1_3repE0EEENS1_30default_config_static_selectorELNS0_4arch9wavefront6targetE0EEEvSR_.private_seg_size, 0
	.set _ZN7rocprim17ROCPRIM_400000_NS6detail17trampoline_kernelINS0_14default_configENS1_22reduce_config_selectorI18summary_stats_dataIfEEEZNS1_11reduce_implILb1ES3_N6thrust23THRUST_200600_302600_NS11hip_rocprim26transform_input_iterator_tIS6_NSA_6detail15normal_iteratorINSA_10device_ptrIfEEEE22summary_stats_unary_opIfEEEPS6_S6_23summary_stats_binary_opIfEEE10hipError_tPvRmT1_T2_T3_mT4_P12ihipStream_tbEUlT_E0_NS1_11comp_targetILNS1_3genE8ELNS1_11target_archE1030ELNS1_3gpuE2ELNS1_3repE0EEENS1_30default_config_static_selectorELNS0_4arch9wavefront6targetE0EEEvSR_.uses_vcc, 0
	.set _ZN7rocprim17ROCPRIM_400000_NS6detail17trampoline_kernelINS0_14default_configENS1_22reduce_config_selectorI18summary_stats_dataIfEEEZNS1_11reduce_implILb1ES3_N6thrust23THRUST_200600_302600_NS11hip_rocprim26transform_input_iterator_tIS6_NSA_6detail15normal_iteratorINSA_10device_ptrIfEEEE22summary_stats_unary_opIfEEEPS6_S6_23summary_stats_binary_opIfEEE10hipError_tPvRmT1_T2_T3_mT4_P12ihipStream_tbEUlT_E0_NS1_11comp_targetILNS1_3genE8ELNS1_11target_archE1030ELNS1_3gpuE2ELNS1_3repE0EEENS1_30default_config_static_selectorELNS0_4arch9wavefront6targetE0EEEvSR_.uses_flat_scratch, 0
	.set _ZN7rocprim17ROCPRIM_400000_NS6detail17trampoline_kernelINS0_14default_configENS1_22reduce_config_selectorI18summary_stats_dataIfEEEZNS1_11reduce_implILb1ES3_N6thrust23THRUST_200600_302600_NS11hip_rocprim26transform_input_iterator_tIS6_NSA_6detail15normal_iteratorINSA_10device_ptrIfEEEE22summary_stats_unary_opIfEEEPS6_S6_23summary_stats_binary_opIfEEE10hipError_tPvRmT1_T2_T3_mT4_P12ihipStream_tbEUlT_E0_NS1_11comp_targetILNS1_3genE8ELNS1_11target_archE1030ELNS1_3gpuE2ELNS1_3repE0EEENS1_30default_config_static_selectorELNS0_4arch9wavefront6targetE0EEEvSR_.has_dyn_sized_stack, 0
	.set _ZN7rocprim17ROCPRIM_400000_NS6detail17trampoline_kernelINS0_14default_configENS1_22reduce_config_selectorI18summary_stats_dataIfEEEZNS1_11reduce_implILb1ES3_N6thrust23THRUST_200600_302600_NS11hip_rocprim26transform_input_iterator_tIS6_NSA_6detail15normal_iteratorINSA_10device_ptrIfEEEE22summary_stats_unary_opIfEEEPS6_S6_23summary_stats_binary_opIfEEE10hipError_tPvRmT1_T2_T3_mT4_P12ihipStream_tbEUlT_E0_NS1_11comp_targetILNS1_3genE8ELNS1_11target_archE1030ELNS1_3gpuE2ELNS1_3repE0EEENS1_30default_config_static_selectorELNS0_4arch9wavefront6targetE0EEEvSR_.has_recursion, 0
	.set _ZN7rocprim17ROCPRIM_400000_NS6detail17trampoline_kernelINS0_14default_configENS1_22reduce_config_selectorI18summary_stats_dataIfEEEZNS1_11reduce_implILb1ES3_N6thrust23THRUST_200600_302600_NS11hip_rocprim26transform_input_iterator_tIS6_NSA_6detail15normal_iteratorINSA_10device_ptrIfEEEE22summary_stats_unary_opIfEEEPS6_S6_23summary_stats_binary_opIfEEE10hipError_tPvRmT1_T2_T3_mT4_P12ihipStream_tbEUlT_E0_NS1_11comp_targetILNS1_3genE8ELNS1_11target_archE1030ELNS1_3gpuE2ELNS1_3repE0EEENS1_30default_config_static_selectorELNS0_4arch9wavefront6targetE0EEEvSR_.has_indirect_call, 0
	.section	.AMDGPU.csdata,"",@progbits
; Kernel info:
; codeLenInByte = 0
; TotalNumSgprs: 0
; NumVgprs: 0
; ScratchSize: 0
; MemoryBound: 0
; FloatMode: 240
; IeeeMode: 1
; LDSByteSize: 0 bytes/workgroup (compile time only)
; SGPRBlocks: 0
; VGPRBlocks: 0
; NumSGPRsForWavesPerEU: 1
; NumVGPRsForWavesPerEU: 1
; NamedBarCnt: 0
; Occupancy: 16
; WaveLimiterHint : 0
; COMPUTE_PGM_RSRC2:SCRATCH_EN: 0
; COMPUTE_PGM_RSRC2:USER_SGPR: 2
; COMPUTE_PGM_RSRC2:TRAP_HANDLER: 0
; COMPUTE_PGM_RSRC2:TGID_X_EN: 1
; COMPUTE_PGM_RSRC2:TGID_Y_EN: 0
; COMPUTE_PGM_RSRC2:TGID_Z_EN: 0
; COMPUTE_PGM_RSRC2:TIDIG_COMP_CNT: 0
	.section	.text._ZN7rocprim17ROCPRIM_400000_NS6detail17trampoline_kernelINS0_14default_configENS1_22reduce_config_selectorI18summary_stats_dataIfEEEZNS1_11reduce_implILb1ES3_N6thrust23THRUST_200600_302600_NS11hip_rocprim26transform_input_iterator_tIS6_NSA_6detail15normal_iteratorINSA_10device_ptrIfEEEE22summary_stats_unary_opIfEEEPS6_S6_23summary_stats_binary_opIfEEE10hipError_tPvRmT1_T2_T3_mT4_P12ihipStream_tbEUlT_E1_NS1_11comp_targetILNS1_3genE0ELNS1_11target_archE4294967295ELNS1_3gpuE0ELNS1_3repE0EEENS1_30default_config_static_selectorELNS0_4arch9wavefront6targetE0EEEvSR_,"axG",@progbits,_ZN7rocprim17ROCPRIM_400000_NS6detail17trampoline_kernelINS0_14default_configENS1_22reduce_config_selectorI18summary_stats_dataIfEEEZNS1_11reduce_implILb1ES3_N6thrust23THRUST_200600_302600_NS11hip_rocprim26transform_input_iterator_tIS6_NSA_6detail15normal_iteratorINSA_10device_ptrIfEEEE22summary_stats_unary_opIfEEEPS6_S6_23summary_stats_binary_opIfEEE10hipError_tPvRmT1_T2_T3_mT4_P12ihipStream_tbEUlT_E1_NS1_11comp_targetILNS1_3genE0ELNS1_11target_archE4294967295ELNS1_3gpuE0ELNS1_3repE0EEENS1_30default_config_static_selectorELNS0_4arch9wavefront6targetE0EEEvSR_,comdat
	.protected	_ZN7rocprim17ROCPRIM_400000_NS6detail17trampoline_kernelINS0_14default_configENS1_22reduce_config_selectorI18summary_stats_dataIfEEEZNS1_11reduce_implILb1ES3_N6thrust23THRUST_200600_302600_NS11hip_rocprim26transform_input_iterator_tIS6_NSA_6detail15normal_iteratorINSA_10device_ptrIfEEEE22summary_stats_unary_opIfEEEPS6_S6_23summary_stats_binary_opIfEEE10hipError_tPvRmT1_T2_T3_mT4_P12ihipStream_tbEUlT_E1_NS1_11comp_targetILNS1_3genE0ELNS1_11target_archE4294967295ELNS1_3gpuE0ELNS1_3repE0EEENS1_30default_config_static_selectorELNS0_4arch9wavefront6targetE0EEEvSR_ ; -- Begin function _ZN7rocprim17ROCPRIM_400000_NS6detail17trampoline_kernelINS0_14default_configENS1_22reduce_config_selectorI18summary_stats_dataIfEEEZNS1_11reduce_implILb1ES3_N6thrust23THRUST_200600_302600_NS11hip_rocprim26transform_input_iterator_tIS6_NSA_6detail15normal_iteratorINSA_10device_ptrIfEEEE22summary_stats_unary_opIfEEEPS6_S6_23summary_stats_binary_opIfEEE10hipError_tPvRmT1_T2_T3_mT4_P12ihipStream_tbEUlT_E1_NS1_11comp_targetILNS1_3genE0ELNS1_11target_archE4294967295ELNS1_3gpuE0ELNS1_3repE0EEENS1_30default_config_static_selectorELNS0_4arch9wavefront6targetE0EEEvSR_
	.globl	_ZN7rocprim17ROCPRIM_400000_NS6detail17trampoline_kernelINS0_14default_configENS1_22reduce_config_selectorI18summary_stats_dataIfEEEZNS1_11reduce_implILb1ES3_N6thrust23THRUST_200600_302600_NS11hip_rocprim26transform_input_iterator_tIS6_NSA_6detail15normal_iteratorINSA_10device_ptrIfEEEE22summary_stats_unary_opIfEEEPS6_S6_23summary_stats_binary_opIfEEE10hipError_tPvRmT1_T2_T3_mT4_P12ihipStream_tbEUlT_E1_NS1_11comp_targetILNS1_3genE0ELNS1_11target_archE4294967295ELNS1_3gpuE0ELNS1_3repE0EEENS1_30default_config_static_selectorELNS0_4arch9wavefront6targetE0EEEvSR_
	.p2align	8
	.type	_ZN7rocprim17ROCPRIM_400000_NS6detail17trampoline_kernelINS0_14default_configENS1_22reduce_config_selectorI18summary_stats_dataIfEEEZNS1_11reduce_implILb1ES3_N6thrust23THRUST_200600_302600_NS11hip_rocprim26transform_input_iterator_tIS6_NSA_6detail15normal_iteratorINSA_10device_ptrIfEEEE22summary_stats_unary_opIfEEEPS6_S6_23summary_stats_binary_opIfEEE10hipError_tPvRmT1_T2_T3_mT4_P12ihipStream_tbEUlT_E1_NS1_11comp_targetILNS1_3genE0ELNS1_11target_archE4294967295ELNS1_3gpuE0ELNS1_3repE0EEENS1_30default_config_static_selectorELNS0_4arch9wavefront6targetE0EEEvSR_,@function
_ZN7rocprim17ROCPRIM_400000_NS6detail17trampoline_kernelINS0_14default_configENS1_22reduce_config_selectorI18summary_stats_dataIfEEEZNS1_11reduce_implILb1ES3_N6thrust23THRUST_200600_302600_NS11hip_rocprim26transform_input_iterator_tIS6_NSA_6detail15normal_iteratorINSA_10device_ptrIfEEEE22summary_stats_unary_opIfEEEPS6_S6_23summary_stats_binary_opIfEEE10hipError_tPvRmT1_T2_T3_mT4_P12ihipStream_tbEUlT_E1_NS1_11comp_targetILNS1_3genE0ELNS1_11target_archE4294967295ELNS1_3gpuE0ELNS1_3repE0EEENS1_30default_config_static_selectorELNS0_4arch9wavefront6targetE0EEEvSR_: ; @_ZN7rocprim17ROCPRIM_400000_NS6detail17trampoline_kernelINS0_14default_configENS1_22reduce_config_selectorI18summary_stats_dataIfEEEZNS1_11reduce_implILb1ES3_N6thrust23THRUST_200600_302600_NS11hip_rocprim26transform_input_iterator_tIS6_NSA_6detail15normal_iteratorINSA_10device_ptrIfEEEE22summary_stats_unary_opIfEEEPS6_S6_23summary_stats_binary_opIfEEE10hipError_tPvRmT1_T2_T3_mT4_P12ihipStream_tbEUlT_E1_NS1_11comp_targetILNS1_3genE0ELNS1_11target_archE4294967295ELNS1_3gpuE0ELNS1_3repE0EEENS1_30default_config_static_selectorELNS0_4arch9wavefront6targetE0EEEvSR_
; %bb.0:
	s_clause 0x3
	s_load_b32 s19, s[0:1], 0x4
	s_load_b64 s[22:23], s[0:1], 0x8
	s_load_b256 s[8:15], s[0:1], 0x18
	s_load_b96 s[16:18], s[0:1], 0x38
	s_wait_kmcnt 0x0
	s_cmp_lt_i32 s19, 2
	s_cbranch_scc1 .LBB27_9
; %bb.1:
	s_cmp_gt_i32 s19, 3
	s_cbranch_scc0 .LBB27_10
; %bb.2:
	s_cmp_eq_u32 s19, 4
	s_mov_b32 s27, 0
	s_cbranch_scc0 .LBB27_11
; %bb.3:
	s_bfe_u32 s0, ttmp6, 0x4000c
	s_and_b32 s1, ttmp6, 15
	s_add_co_i32 s0, s0, 1
	s_getreg_b32 s2, hwreg(HW_REG_IB_STS2, 6, 4)
	s_mul_i32 s0, ttmp9, s0
	s_mov_b32 s21, 0
	s_add_co_i32 s1, s1, s0
	s_cmp_eq_u32 s2, 0
	s_mov_b32 s25, s21
	s_cselect_b32 s20, ttmp9, s1
	s_lshr_b64 s[0:1], s[8:9], 10
	s_lshl_b32 s24, s20, 10
	s_delay_alu instid0(SALU_CYCLE_1)
	s_lshl_b64 s[2:3], s[24:25], 2
	s_cmp_lg_u64 s[0:1], s[20:21]
	s_add_nc_u64 s[6:7], s[22:23], s[2:3]
	s_cbranch_scc0 .LBB27_20
; %bb.4:
	s_clause 0x3
	global_load_b32 v9, v0, s[6:7] scale_offset
	global_load_b32 v1, v0, s[6:7] offset:1024 scale_offset
	global_load_b32 v13, v0, s[6:7] offset:2048 scale_offset
	global_load_b32 v10, v0, s[6:7] offset:3072 scale_offset
	v_mov_b32_e32 v14, 4.0
	v_dual_mov_b32 v4, 0x40400000 :: v_dual_mov_b32 v21, 2.0
	v_dual_mov_b32 v2, 0 :: v_dual_mov_b32 v24, 0.5
	s_delay_alu instid0(VALU_DEP_3)
	v_mov_b32_dpp v11, v14 quad_perm:[1,0,3,2] row_mask:0xf bank_mask:0xf
	v_mov_b64_e32 v[22:23], 0x3e8000003f000000
	s_mov_b32 s26, 0x40400000
	v_mov_b64_e32 v[18:19], 0x3d8000003e800000
	v_mov_b64_e32 v[16:17], 0x4080000040400000
	v_dual_mul_f32 v26, v11, v11 :: v_dual_add_f32 v34, -4.0, v11
	v_mov_b64_e32 v[6:7], 0x40c0000040800000
	s_delay_alu instid0(VALU_DEP_2) | instskip(SKIP_2) | instid1(VALU_DEP_2)
	v_dual_mov_b32 v27, v14 :: v_dual_fma_f32 v3, -4.0, v11, v26
	s_wait_loadcnt 0x2
	v_cmp_lt_f32_e32 vcc_lo, v1, v9
	v_dual_sub_f32 v12, v1, v9 :: v_dual_add_f32 v35, 0x41800000, v3
	v_cndmask_b32_e32 v3, v9, v1, vcc_lo
	v_cmp_lt_f32_e32 vcc_lo, v9, v1
	s_delay_alu instid0(VALU_DEP_3) | instskip(SKIP_3) | instid1(VALU_DEP_3)
	v_dual_mov_b32 v8, v12 :: v_dual_mul_f32 v5, 4.0, v12
	v_dual_mul_f32 v28, v12, v12 :: v_dual_cndmask_b32 v1, v9, v1
	s_wait_loadcnt 0x1
	v_cmp_lt_f32_e32 vcc_lo, v13, v3
	v_dual_fmac_f32 v9, 0.5, v12 :: v_dual_mul_f32 v15, 0, v5
	s_delay_alu instid0(VALU_DEP_3) | instskip(SKIP_1) | instid1(VALU_DEP_3)
	v_dual_mov_b32 v5, v28 :: v_dual_cndmask_b32 v3, v3, v13, vcc_lo
	v_cmp_lt_f32_e32 vcc_lo, v1, v13
	v_pk_add_f32 v[30:31], v[12:13], v[8:9] neg_lo:[0,1] neg_hi:[0,1]
	v_mul_f32_e32 v8, 0x40c00000, v28
	s_delay_alu instid0(VALU_DEP_4)
	v_pk_mul_f32 v[32:33], v[12:13], v[4:5] op_sel_hi:[0,1]
	v_cndmask_b32_e32 v1, v1, v13, vcc_lo
	s_wait_loadcnt 0x0
	v_cmp_lt_f32_e32 vcc_lo, v10, v3
	v_dual_mov_b32 v29, v31 :: v_dual_mul_f32 v5, 0, v8
	v_mov_b32_e32 v25, v31
	v_div_scale_f32 v8, null, 0x40400000, 0x40400000, v31
	v_cndmask_b32_e32 v36, v3, v10, vcc_lo
	v_cmp_lt_f32_e32 vcc_lo, v1, v10
	v_dual_mov_b32 v3, v31 :: v_dual_mul_f32 v20, 0x40400000, v31
	v_mul_f32_e32 v41, v12, v33
	v_pk_mul_f32 v[12:13], v[32:33], 0 op_sel_hi:[1,0]
	v_cndmask_b32_e32 v1, v1, v10, vcc_lo
	v_mov_b32_dpp v39, v36 quad_perm:[1,0,3,2] row_mask:0xf bank_mask:0xf
	v_pk_mul_f32 v[32:33], v[28:29], v[24:25]
	v_pk_fma_f32 v[24:25], v[28:29], v[24:25], v[2:3] neg_lo:[1,0,0] neg_hi:[1,0,0]
	v_rcp_f32_e32 v3, v8
	v_mov_b32_dpp v40, v1 quad_perm:[1,0,3,2] row_mask:0xf bank_mask:0xf
	v_cmp_lt_f32_e64 s0, v36, v39
	v_mul_f32_e32 v38, 4.0, v31
	v_pk_mul_f32 v[12:13], v[12:13], v[22:23]
	v_pk_mul_f32 v[22:23], v[30:31], v[32:33]
	s_delay_alu instid0(VALU_DEP_4) | instskip(SKIP_2) | instid1(VALU_DEP_4)
	v_dual_add_f32 v22, v33, v33 :: v_dual_cndmask_b32 v28, v39, v36, s0
	v_cmp_gt_f32_e64 s0, v1, v40
	v_fma_f32 v39, -v8, v3, 1.0
	v_dual_mul_f32 v30, 0x40c00000, v33 :: v_dual_mov_b32 v25, v23
	s_delay_alu instid0(VALU_DEP_4) | instskip(NEXT) | instid1(VALU_DEP_4)
	v_mov_b32_dpp v33, v28 quad_perm:[2,3,0,1] row_mask:0xf bank_mask:0xf
	v_cndmask_b32_e64 v1, v40, v1, s0
	v_div_scale_f32 v37, vcc_lo, v31, 0x40400000, v31
	v_fmac_f32_e32 v3, v39, v3
	s_delay_alu instid0(VALU_DEP_4) | instskip(SKIP_3) | instid1(VALU_DEP_3)
	v_cmp_lt_f32_e64 s1, v28, v33
	v_add_f32_e32 v13, 0, v13
	v_dual_fmamk_f32 v29, v41, 0x3e000000, v2 :: v_dual_mul_f32 v30, v32, v30
	v_mov_b32_dpp v36, v1 quad_perm:[2,3,0,1] row_mask:0xf bank_mask:0xf
	v_dual_cndmask_b32 v28, v33, v28, s1 :: v_dual_add_f32 v33, v12, v13
	v_mul_f32_e32 v39, v37, v3
	v_pk_mul_f32 v[12:13], v[24:25], v[20:21]
	s_delay_alu instid0(VALU_DEP_4) | instskip(NEXT) | instid1(VALU_DEP_4)
	v_cmp_gt_f32_e64 s1, v1, v36
	v_mov_b32_dpp v25, v28 row_ror:4 row_mask:0xf bank_mask:0xf
	v_div_scale_f32 v20, null, 0x41100000, 0x41100000, v30
	s_delay_alu instid0(VALU_DEP_4) | instskip(NEXT) | instid1(VALU_DEP_3)
	v_div_scale_f32 v41, null, 0x40400000, 0x40400000, v12
	v_cmp_lt_f32_e64 s4, v28, v25
	v_mul_f32_e64 v38, v38, -v33
	v_div_scale_f32 v42, s2, v12, 0x40400000, v12
	s_delay_alu instid0(VALU_DEP_4) | instskip(NEXT) | instid1(VALU_DEP_3)
	v_rcp_f32_e32 v46, v41
	v_dual_cndmask_b32 v25, v25, v28, s4 :: v_dual_fma_f32 v28, -v8, v39, v37
	v_div_scale_f32 v43, null, 0x41100000, 0x41100000, v13
	v_div_scale_f32 v44, s3, v13, 0x41100000, v13
	s_delay_alu instid0(TRANS32_DEP_1) | instskip(SKIP_3) | instid1(VALU_DEP_4)
	v_fma_f32 v51, -v41, v46, 1.0
	v_fmac_f32_e32 v29, 0x3e800000, v5
	v_mul_f32_e32 v5, v31, v23
	v_div_scale_f32 v23, null, 0x40400000, 0x40400000, v22
	v_dual_fmac_f32 v46, v51, v46 :: v_dual_cndmask_b32 v1, v36, v1, s1
	s_delay_alu instid0(VALU_DEP_3) | instskip(SKIP_1) | instid1(VALU_DEP_4)
	v_dual_fmac_f32 v29, 0.5, v15 :: v_dual_add_f32 v5, v5, v5
	v_fmac_f32_e32 v39, v28, v3
	v_rcp_f32_e32 v15, v23
	s_delay_alu instid0(VALU_DEP_3) | instskip(SKIP_1) | instid1(VALU_DEP_3)
	v_mov_b32_dpp v36, v1 row_ror:4 row_mask:0xf bank_mask:0xf
	v_div_scale_f32 v28, null, 0x40400000, 0x40400000, v38
	v_fma_f32 v8, -v8, v39, v37
	v_mov_b32_dpp v37, v25 row_ror:8 row_mask:0xf bank_mask:0xf
	s_delay_alu instid0(VALU_DEP_4)
	v_cmp_gt_f32_e64 s4, v1, v36
	v_rcp_f32_e32 v47, v43
	v_div_scale_f32 v40, s0, v22, 0x40400000, v22
	v_div_fmas_f32 v3, v8, v3, v39
	v_cmp_lt_f32_e32 vcc_lo, v25, v37
	v_cndmask_b32_e64 v1, v36, v1, s4
	v_fma_f32 v36, -v23, v15, 1.0
	v_div_scale_f32 v24, s1, v30, 0x41100000, v30
	v_cndmask_b32_e32 v37, v37, v25, vcc_lo
	v_rcp_f32_e32 v25, v28
	s_delay_alu instid0(VALU_DEP_3) | instskip(SKIP_4) | instid1(VALU_DEP_3)
	v_fmac_f32_e32 v15, v36, v15
	v_mov_b32_dpp v36, v1 row_ror:8 row_mask:0xf bank_mask:0xf
	v_div_fixup_f32 v3, v3, 0x40400000, v31
	v_rcp_f32_e32 v45, v20
	v_div_scale_f32 v50, s5, v38, 0x40400000, v38
	v_cmp_gt_f32_e32 vcc_lo, v1, v36
	s_delay_alu instid0(VALU_DEP_3) | instskip(SKIP_2) | instid1(TRANS32_DEP_1)
	v_add_f32_e32 v53, v9, v3
	v_fma_f32 v3, -v28, v25, 1.0
	v_dual_mul_f32 v31, v40, v15 :: v_dual_mul_f32 v9, v42, v46
	v_fma_f32 v8, -v20, v45, 1.0
	ds_swizzle_b32 v51, v37 offset:swizzle(BROADCAST,32,15)
	v_fmac_f32_e32 v25, v3, v25
	v_cndmask_b32_e32 v1, v36, v1, vcc_lo
	v_fma_f32 v36, -v43, v47, 1.0
	v_fma_f32 v3, -v41, v9, v42
	v_dual_fmac_f32 v45, v8, v45 :: v_dual_fma_f32 v8, -v23, v31, v40
	s_mov_b32 vcc_lo, s0
	s_delay_alu instid0(VALU_DEP_3) | instskip(SKIP_1) | instid1(VALU_DEP_3)
	v_fmac_f32_e32 v47, v36, v47
	v_mul_f32_e32 v5, 0x40400000, v5
	v_dual_fmac_f32 v9, v3, v46 :: v_dual_fmac_f32 v31, v8, v15
	v_mul_f32_e32 v52, v24, v45
	ds_swizzle_b32 v3, v1 offset:swizzle(BROADCAST,32,15)
	v_div_scale_f32 v48, null, 0x41d80000, 0x41d80000, v5
	v_fma_f32 v8, -v23, v31, v40
	v_fma_f32 v23, -v20, v52, v24
	s_delay_alu instid0(VALU_DEP_3) | instskip(NEXT) | instid1(VALU_DEP_2)
	v_rcp_f32_e32 v39, v48
	v_div_fmas_f32 v8, v8, v15, v31
	s_delay_alu instid0(VALU_DEP_2) | instskip(SKIP_2) | instid1(TRANS32_DEP_1)
	v_fmac_f32_e32 v52, v23, v45
	v_mul_f32_e32 v23, v50, v25
	s_mov_b32 vcc_lo, s2
	v_fma_f32 v36, -v48, v39, 1.0
	v_div_fixup_f32 v22, v8, 0x40400000, v22
	v_sub_f32_e32 v8, v10, v53
	s_delay_alu instid0(VALU_DEP_3) | instskip(SKIP_2) | instid1(VALU_DEP_4)
	v_dual_fma_f32 v10, -v41, v9, v42 :: v_dual_fmac_f32 v39, v36, v39
	v_mul_f32_e32 v36, v44, v47
	v_div_scale_f32 v49, s4, v5, 0x41d80000, v5
	v_dual_fmac_f32 v53, 0x3e800000, v8 :: v_dual_add_f32 v22, v32, v22
	s_delay_alu instid0(VALU_DEP_2) | instskip(SKIP_2) | instid1(VALU_DEP_2)
	v_dual_fma_f32 v15, -v43, v36, v44 :: v_dual_mul_f32 v31, v49, v39
	v_div_fmas_f32 v10, v10, v46, v9
	s_mov_b32 vcc_lo, s3
	v_dual_mul_f32 v41, 4.0, v8 :: v_dual_fmac_f32 v36, v15, v47
	s_delay_alu instid0(VALU_DEP_3) | instskip(SKIP_1) | instid1(VALU_DEP_3)
	v_fma_f32 v15, -v48, v31, v49
	v_fma_f32 v24, -v20, v52, v24
	v_dual_fma_f32 v20, -v28, v23, v50 :: v_dual_fma_f32 v40, -v43, v36, v44
	s_delay_alu instid0(VALU_DEP_3) | instskip(NEXT) | instid1(VALU_DEP_2)
	v_dual_fmac_f32 v31, v15, v39 :: v_dual_mul_f32 v15, v8, v8
	v_fmac_f32_e32 v23, v20, v25
	v_mov_b32_dpp v43, v53 quad_perm:[1,0,3,2] row_mask:0xf bank_mask:0xf
	s_delay_alu instid0(VALU_DEP_4) | instskip(NEXT) | instid1(VALU_DEP_4)
	v_div_fmas_f32 v36, v40, v47, v36
	v_fma_f32 v20, -v48, v31, v49
	s_mov_b32 vcc_lo, s4
	v_div_fixup_f32 v40, v10, 0x40400000, v12
	v_sub_f32_e32 v12, v53, v43
	v_div_fixup_f32 v13, v36, 0x41100000, v13
	v_div_fmas_f32 v10, v20, v39, v31
	v_dual_sub_f32 v20, 0, v22 :: v_dual_mul_f32 v9, v8, v15
	v_mul_f32_e32 v32, 0x40400000, v15
	v_mul_f32_e32 v42, 0x40c00000, v15
	s_mov_b32 vcc_lo, s1
	v_div_fixup_f32 v5, v10, 0x41d80000, v5
	v_mul_f32_e32 v31, v8, v9
	v_fmamk_f32 v15, v32, 0x3e800000, v22
	v_fma_f32 v28, -v28, v23, v50
	v_pk_mul_f32 v[8:9], v[8:9], s[26:27] op_sel_hi:[1,0]
	v_div_fmas_f32 v24, v24, v45, v52
	s_mov_b32 vcc_lo, s5
	v_mov_b32_dpp v10, v15 quad_perm:[1,0,3,2] row_mask:0xf bank_mask:0xf
	v_div_fmas_f32 v23, v28, v25, v23
	v_pk_mul_f32 v[8:9], v[8:9], v[20:21]
	v_dual_mul_f32 v21, 0x40400000, v31 :: v_dual_mul_f32 v28, v12, v12
	v_dual_mul_f32 v25, v26, v15 :: v_dual_mul_f32 v31, 4.0, v12
	v_dual_mov_b32 v26, v15 :: v_dual_mul_f32 v20, v15, v11
	v_add_f32_e32 v13, v33, v13
	v_div_fixup_f32 v24, v24, 0x41100000, v30
	v_div_fixup_f32 v30, v23, 0x40400000, v38
	v_dual_add_f32 v5, v29, v5 :: v_dual_mul_f32 v23, v12, v28
	v_pk_mul_f32 v[8:9], v[8:9], v[18:19]
	v_pk_add_f32 v[18:19], v[26:27], v[10:11]
	v_fmac_f32_e32 v25, 0x41800000, v10
	v_pk_fma_f32 v[14:15], v[14:15], v[10:11], v[20:21] op_sel_hi:[1,1,0] neg_lo:[1,0,0] neg_hi:[1,0,0]
	v_add_f32_e32 v10, v40, v13
	v_dual_mul_f32 v26, 0x40c00000, v28 :: v_dual_mul_f32 v27, v28, v11
	v_mul_f32_e32 v13, v23, v11
	v_div_scale_f32 v28, null, v19, v19, v31
	v_mul_f32_e32 v29, 0x40e00000, v21
	v_pk_mul_f32 v[20:21], v[18:19], v[18:19]
	v_dual_mov_b32 v15, v34 :: v_dual_add_f32 v24, v24, v5
	v_dual_mul_f32 v20, v12, v23 :: v_dual_add_f32 v33, v10, v9
	v_dual_mul_f32 v27, 4.0, v27 :: v_dual_mul_f32 v26, v26, v25
	v_pk_mul_f32 v[12:13], v[12:13], v[16:17]
	v_rcp_f32_e32 v17, v28
	v_mov_b32_dpp v23, v19 quad_perm:[2,3,0,1] row_mask:0xf bank_mask:0xf
	v_dual_mul_f32 v10, v41, -v10 :: v_dual_add_f32 v24, v30, v24
	v_dual_mul_f32 v30, v19, v21 :: v_dual_mul_f32 v16, v20, v11
	v_add_f32_e32 v8, v8, v33
	v_div_scale_f32 v20, null, v19, v19, v27
	v_div_scale_f32 v36, null, v21, v21, v26
	v_dual_mul_f32 v22, v22, v42 :: v_dual_mul_f32 v39, v23, v23
	v_mov_b32_e32 v9, v23
	v_pk_mul_f32 v[12:13], v[12:13], v[14:15]
	v_mul_f32_e32 v14, 4.0, v16
	v_mov_b32_dpp v33, v8 quad_perm:[1,0,3,2] row_mask:0xf bank_mask:0xf
	v_fmamk_f32 v24, v29, 0x3c800000, v24
	v_fma_f32 v40, -v28, v17, 1.0
	v_rcp_f32_e32 v15, v20
	v_rcp_f32_e32 v16, v36
	v_div_scale_f32 v32, vcc_lo, v31, v19, v31
	v_dual_fma_f32 v29, -v19, v23, v39 :: v_dual_add_f32 v44, v8, v33
	v_dual_mul_f32 v14, v35, v14 :: v_dual_fmac_f32 v17, v40, v17
	v_dual_mul_f32 v33, -4.0, v33 :: v_dual_fmamk_f32 v22, v22, 0x3d800000, v24
	s_delay_alu instid0(VALU_DEP_3)
	v_add_f32_e32 v29, v21, v29
	v_div_scale_f32 v41, null, v21, v21, v13
	v_div_scale_f32 v24, null, v19, v19, v12
	v_fma_f32 v40, -v20, v15, 1.0
	v_fma_f32 v45, -v36, v16, 1.0
	v_dual_fmac_f32 v22, 0x3e800000, v10 :: v_dual_fmac_f32 v33, v8, v11
	v_mul_f32_e32 v8, v32, v17
	v_rcp_f32_e32 v46, v41
	v_div_scale_f32 v47, null, v30, v30, v14
	v_div_scale_f32 v34, s0, v27, v19, v27
	v_rcp_f32_e32 v10, v24
	v_dual_fmac_f32 v15, v40, v15 :: v_dual_mul_f32 v33, v31, v33
	v_div_scale_f32 v38, s1, v26, v21, v26
	v_fmac_f32_e32 v16, v45, v16
	s_delay_alu instid0(VALU_DEP_3)
	v_dual_fma_f32 v45, -v28, v8, v32 :: v_dual_mul_f32 v49, v34, v15
	v_rcp_f32_e32 v40, v47
	v_mov_b32_dpp v11, v22 quad_perm:[1,0,3,2] row_mask:0xf bank_mask:0xf
	v_fma_f32 v52, -v41, v46, 1.0
	v_fma_f32 v50, -v24, v10, 1.0
	v_dual_mul_f32 v53, v38, v16 :: v_dual_fmac_f32 v8, v45, v17
	v_div_scale_f32 v42, s3, v13, v21, v13
	v_dual_add_f32 v11, v22, v11 :: v_dual_fma_f32 v22, -v20, v49, v34
	v_fmac_f32_e32 v46, v52, v46
	v_fma_f32 v45, -v47, v40, 1.0
	v_div_scale_f32 v52, null, v19, v19, v33
	v_div_scale_f32 v35, s2, v12, v19, v12
	v_dual_fmac_f32 v10, v50, v10 :: v_dual_fma_f32 v28, -v28, v8, v32
	v_dual_fma_f32 v50, -v36, v53, v38 :: v_dual_fmac_f32 v49, v22, v15
	v_dual_mul_f32 v32, v42, v46 :: v_dual_fmac_f32 v40, v45, v40
	v_rcp_f32_e32 v45, v52
	v_div_scale_f32 v48, s4, v14, v30, v14
	s_delay_alu instid0(VALU_DEP_3) | instskip(SKIP_2) | instid1(VALU_DEP_3)
	v_dual_mul_f32 v22, v35, v10 :: v_dual_fmac_f32 v53, v50, v16
	v_div_fmas_f32 v8, v28, v17, v8
	v_fma_f32 v17, -v20, v49, v34
	v_dual_fma_f32 v28, -v41, v32, v42 :: v_dual_fma_f32 v20, -v24, v22, v35
	s_delay_alu instid0(VALU_DEP_4)
	v_fma_f32 v36, -v36, v53, v38
	v_fma_f32 v38, -v52, v45, 1.0
	v_mul_f32_e32 v34, v48, v40
	s_mov_b32 vcc_lo, s0
	v_div_scale_f32 v54, s5, v33, v19, v33
	v_div_fixup_f32 v8, v8, v19, v31
	v_div_fmas_f32 v15, v17, v15, v49
	v_dual_fmac_f32 v45, v38, v45 :: v_dual_fmac_f32 v22, v20, v10
	v_fma_f32 v17, -v47, v34, v48
	v_fmac_f32_e32 v32, v28, v46
	s_mov_b32 vcc_lo, s2
	v_dual_mov_b32 v5, v19 :: v_dual_mov_b32 v25, v19
	s_delay_alu instid0(VALU_DEP_3) | instskip(SKIP_3) | instid1(VALU_DEP_4)
	v_dual_fmac_f32 v34, v17, v40 :: v_dual_add_f32 v20, v8, v43
	v_div_fixup_f32 v8, v15, v19, v27
	v_dual_mul_f32 v27, v54, v45 :: v_dual_fma_f32 v15, -v24, v22, v35
	v_fma_f32 v24, -v41, v32, v42
	v_mov_b32_dpp v28, v20 quad_perm:[2,3,0,1] row_mask:0xf bank_mask:0xf
	s_delay_alu instid0(VALU_DEP_3) | instskip(NEXT) | instid1(VALU_DEP_4)
	v_dual_add_f32 v18, v18, v8 :: v_dual_fma_f32 v17, -v52, v27, v54
	v_div_fmas_f32 v8, v15, v10, v22
	v_fma_f32 v10, -v47, v34, v48
	s_mov_b32 vcc_lo, s3
	s_delay_alu instid0(VALU_DEP_3)
	v_mov_b32_dpp v22, v18 quad_perm:[2,3,0,1] row_mask:0xf bank_mask:0xf
	v_div_fmas_f32 v15, v24, v46, v32
	s_mov_b32 vcc_lo, s4
	v_div_fixup_f32 v31, v8, v19, v12
	v_div_fmas_f32 v12, v10, v40, v34
	v_dual_mul_f32 v8, v18, v23 :: v_dual_sub_f32 v10, v20, v28
	s_mov_b32 vcc_lo, s1
	v_div_fixup_f32 v15, v15, v21, v13
	v_div_fmas_f32 v16, v36, v16, v53
	v_dual_fmac_f32 v27, v17, v45 :: v_dual_mul_f32 v24, v19, v22
	v_div_fixup_f32 v14, v12, v30, v14
	v_mul_f32_e32 v20, v21, v22
	v_pk_add_f32 v[12:13], v[18:19], v[22:23]
	v_dual_mul_f32 v17, v10, v10 :: v_dual_mul_f32 v30, v19, v10
	v_dual_mul_f32 v32, 4.0, v10 :: v_dual_add_f32 v22, v44, v15
	v_div_fixup_f32 v16, v16, v21, v26
	v_dual_fma_f32 v26, -v52, v27, v54 :: v_dual_add_f32 v11, v11, v14
	s_delay_alu instid0(VALU_DEP_4)
	v_dual_mul_f32 v34, v10, v17 :: v_dual_fmac_f32 v20, v39, v18
	v_mul_f32_e32 v35, v17, v23
	v_pk_mul_f32 v[14:15], v[12:13], v[12:13]
	v_pk_add_f32 v[8:9], v[8:9], v[24:25] neg_lo:[0,1] neg_hi:[0,1]
	v_dual_mul_f32 v24, 0x40c00000, v17 :: v_dual_mov_b32 v21, v13
	v_div_scale_f32 v36, null, v13, v13, v30
	s_mov_b32 vcc_lo, s5
	v_dual_add_f32 v31, v31, v22 :: v_dual_add_f32 v16, v16, v11
	v_div_fmas_f32 v26, v26, v45, v27
	v_mov_b32_dpp v17, v13 row_ror:4 row_mask:0xf bank_mask:0xf
	v_dual_mul_f32 v27, v13, v15 :: v_dual_mul_f32 v39, v10, v34
	v_mul_f32_e32 v35, v19, v35
	s_delay_alu instid0(VALU_DEP_3)
	v_dual_mul_f32 v11, v34, v23 :: v_dual_mov_b32 v25, v17
	v_mul_f32_e32 v34, v24, v20
	v_rcp_f32_e32 v20, v36
	v_div_fixup_f32 v24, v26, v19, v33
	v_mov_b32_dpp v26, v31 quad_perm:[2,3,0,1] row_mask:0xf bank_mask:0xf
	v_pk_mul_f32 v[10:11], v[4:5], v[10:11]
	v_div_scale_f32 v33, null, v13, v13, v35
	v_div_scale_f32 v40, null, v15, v15, v34
	v_dual_mov_b32 v22, v15 :: v_dual_add_f32 v16, v24, v16
	v_mul_f32_e32 v24, v19, v26
	v_add_f32_e32 v42, v31, v26
	v_fma_f32 v26, -v36, v20, 1.0
	v_mul_f32_e32 v5, v39, v23
	v_pk_mul_f32 v[8:9], v[10:11], v[8:9]
	v_rcp_f32_e32 v10, v33
	v_rcp_f32_e32 v43, v40
	v_div_scale_f32 v38, s0, v30, v13, v30
	v_mov_b32_dpp v11, v16 quad_perm:[2,3,0,1] row_mask:0xf bank_mask:0xf
	v_dual_fmac_f32 v20, v26, v20 :: v_dual_mul_f32 v5, v19, v5
	v_fma_f32 v19, v31, v23, -v24
	v_div_scale_f32 v26, null, v15, v15, v9
	s_delay_alu instid0(VALU_DEP_3) | instskip(NEXT) | instid1(VALU_DEP_3)
	v_dual_add_f32 v31, v16, v11 :: v_dual_mul_f32 v5, v29, v5
	v_dual_mul_f32 v32, v32, v19 :: v_dual_mul_f32 v11, v38, v20
	v_fma_f32 v16, -v33, v10, 1.0
	v_fma_f32 v19, -v40, v43, 1.0
	v_div_scale_f32 v39, s1, v35, v13, v35
	v_div_scale_f32 v23, null, v13, v13, v8
	s_delay_alu instid0(VALU_DEP_3) | instskip(SKIP_3) | instid1(VALU_DEP_2)
	v_dual_fmac_f32 v10, v16, v10 :: v_dual_fmac_f32 v43, v19, v43
	v_fma_f32 v46, -v36, v11, v38
	v_rcp_f32_e32 v45, v26
	v_div_scale_f32 v41, s2, v34, v15, v34
	v_dual_mul_f32 v19, v39, v10 :: v_dual_fmac_f32 v11, v46, v20
	v_rcp_f32_e32 v44, v23
	v_div_scale_f32 v47, null, v27, v27, v5
	s_delay_alu instid0(VALU_DEP_3) | instskip(NEXT) | instid1(VALU_DEP_3)
	v_mul_f32_e32 v49, v41, v43
	v_fma_f32 v36, -v36, v11, v38
	v_fma_f32 v38, -v26, v45, 1.0
	v_div_scale_f32 v16, null, v13, v13, v32
	v_rcp_f32_e32 v46, v47
	s_mov_b32 vcc_lo, s0
	v_fma_f32 v48, -v23, v44, 1.0
	v_fmac_f32_e32 v45, v38, v45
	v_div_fmas_f32 v11, v36, v20, v11
	v_fma_f32 v36, -v33, v19, v39
	v_rcp_f32_e32 v20, v16
	v_div_scale_f32 v29, s4, v9, v15, v9
	v_fmac_f32_e32 v44, v48, v44
	v_fma_f32 v48, -v47, v46, 1.0
	v_fmac_f32_e32 v19, v36, v10
	v_div_scale_f32 v24, s3, v8, v13, v8
	v_fma_f32 v38, -v40, v49, v41
	v_fma_f32 v36, -v16, v20, 1.0
	s_delay_alu instid0(VALU_DEP_4)
	v_dual_fmac_f32 v46, v48, v46 :: v_dual_fma_f32 v33, -v33, v19, v39
	v_mul_f32_e32 v39, v29, v45
	s_mov_b32 vcc_lo, s1
	v_div_scale_f32 v48, s0, v5, v27, v5
	v_dual_fmac_f32 v49, v38, v43 :: v_dual_mul_f32 v38, v24, v44
	v_div_fixup_f32 v11, v11, v13, v30
	v_div_fmas_f32 v10, v33, v10, v19
	v_dual_fma_f32 v19, -v26, v39, v29 :: v_dual_fmac_f32 v20, v36, v20
	v_div_scale_f32 v36, s5, v32, v13, v32
	v_dual_fma_f32 v30, -v23, v38, v24 :: v_dual_fma_f32 v40, -v40, v49, v41
	v_dual_mul_f32 v33, v48, v46 :: v_dual_add_f32 v11, v11, v28
	s_delay_alu instid0(VALU_DEP_3) | instskip(SKIP_1) | instid1(VALU_DEP_3)
	v_dual_fmac_f32 v39, v19, v45 :: v_dual_mul_f32 v41, v36, v20
	v_div_fixup_f32 v10, v10, v13, v35
	v_dual_fma_f32 v19, -v47, v33, v48 :: v_dual_fmac_f32 v38, v30, v44
	s_mov_b32 vcc_lo, s3
	s_delay_alu instid0(VALU_DEP_3) | instskip(NEXT) | instid1(VALU_DEP_2)
	v_dual_fma_f32 v28, -v16, v41, v36 :: v_dual_mov_b32 v14, v13
	v_dual_mov_b32 v18, v13 :: v_dual_fma_f32 v23, -v23, v38, v24
	v_fma_f32 v24, -v26, v39, v29
	s_delay_alu instid0(VALU_DEP_3)
	v_fmac_f32_e32 v41, v28, v20
	v_fmac_f32_e32 v33, v19, v46
	v_mov_b32_dpp v29, v11 row_ror:4 row_mask:0xf bank_mask:0xf
	v_add_f32_e32 v19, v12, v10
	v_div_fmas_f32 v10, v23, v44, v38
	s_mov_b32 vcc_lo, s4
	v_fma_f32 v28, -v16, v41, v36
	v_fma_f32 v23, -v47, v33, v48
	v_sub_f32_e32 v12, v11, v29
	v_div_fmas_f32 v26, v24, v45, v39
	s_mov_b32 vcc_lo, s0
	v_div_fixup_f32 v30, v10, v13, v8
	v_div_fmas_f32 v8, v23, v46, v33
	v_mov_b32_dpp v16, v19 row_ror:4 row_mask:0xf bank_mask:0xf
	v_dual_mul_f32 v11, v12, v12 :: v_dual_mul_f32 v33, v13, v12
	v_div_fixup_f32 v23, v26, v15, v9
	s_mov_b32 vcc_lo, s2
	v_div_fixup_f32 v5, v8, v27, v5
	v_div_fmas_f32 v26, v40, v43, v49
	s_mov_b32 vcc_lo, s5
	v_pk_mul_f32 v[8:9], v[16:17], v[16:17]
	v_div_fmas_f32 v28, v28, v20, v41
	v_dual_mul_f32 v27, v12, v11 :: v_dual_mul_f32 v35, v11, v17
	v_dual_mul_f32 v20, v13, v16 :: v_dual_add_f32 v8, v42, v23
	v_dual_mul_f32 v24, v19, v17 :: v_dual_mov_b32 v10, v12
	v_div_fixup_f32 v26, v26, v15, v34
	v_div_fixup_f32 v28, v28, v13, v32
	v_dual_add_f32 v31, v31, v5 :: v_dual_mul_f32 v32, v12, v27
	v_dual_mul_f32 v34, v13, v35 :: v_dual_mul_f32 v5, v27, v17
	v_dual_fma_f32 v27, -v13, v17, v9 :: v_dual_add_f32 v23, v30, v8
	v_pk_add_f32 v[20:21], v[24:25], v[20:21] neg_lo:[0,1] neg_hi:[0,1]
	s_delay_alu instid0(VALU_DEP_4) | instskip(NEXT) | instid1(VALU_DEP_4)
	v_add_f32_e32 v30, v26, v31
	v_pk_mul_f32 v[24:25], v[12:13], v[4:5]
	s_delay_alu instid0(VALU_DEP_4) | instskip(SKIP_3) | instid1(VALU_DEP_4)
	v_dual_mul_f32 v5, v32, v17 :: v_dual_add_f32 v31, v15, v27
	v_mov_b32_e32 v12, v19
	v_mov_b32_dpp v8, v23 row_ror:4 row_mask:0xf bank_mask:0xf
	v_pk_mul_f32 v[26:27], v[22:23], v[16:17]
	v_dual_add_f32 v28, v28, v30 :: v_dual_mul_f32 v5, v13, v5
	s_delay_alu instid0(VALU_DEP_4) | instskip(NEXT) | instid1(VALU_DEP_4)
	v_pk_add_f32 v[12:13], v[12:13], v[16:17]
	v_add_f32_e32 v30, v23, v8
	s_delay_alu instid0(VALU_DEP_4)
	v_pk_fma_f32 v[14:15], v[14:15], v[8:9], v[26:27] op_sel:[0,0,1] op_sel_hi:[1,1,0] neg_lo:[1,0,0] neg_hi:[1,0,0]
	v_pk_fma_f32 v[8:9], v[18:19], v[8:9], v[26:27] op_sel:[0,0,1] op_sel_hi:[1,1,0]
	v_pk_mul_f32 v[10:11], v[10:11], v[6:7]
	v_pk_mul_f32 v[20:21], v[24:25], v[20:21]
	v_div_scale_f32 v18, null, v13, v13, v33
	v_div_scale_f32 v26, null, v13, v13, v34
	v_mov_b32_dpp v16, v13 row_ror:8 row_mask:0xf bank_mask:0xf
	v_dual_mov_b32 v22, v13 :: v_dual_mov_b32 v15, v9
	v_dual_mul_f32 v5, v31, v5 :: v_dual_mov_b32 v19, v13
	v_div_scale_f32 v31, null, v13, v13, v20
	v_rcp_f32_e32 v9, v18
	v_rcp_f32_e32 v35, v26
	v_dual_mov_b32 v23, v16 :: v_dual_mov_b32 v25, v16
	v_pk_mul_f32 v[10:11], v[10:11], v[14:15]
	v_mov_b32_dpp v17, v28 row_ror:4 row_mask:0xf bank_mask:0xf
	v_rcp_f32_e32 v36, v31
	s_delay_alu instid0(VALU_DEP_3) | instskip(SKIP_2) | instid1(VALU_DEP_3)
	v_pk_mul_f32 v[14:15], v[22:23], v[22:23]
	v_div_scale_f32 v24, vcc_lo, v33, v13, v33
	v_div_scale_f32 v40, null, v13, v13, v10
	v_dual_add_f32 v38, v28, v17 :: v_dual_mul_f32 v42, v13, v14
	v_fma_f32 v17, -v18, v9, 1.0
	v_fma_f32 v28, -v26, v35, 1.0
	v_div_scale_f32 v43, null, v14, v14, v21
	v_rcp_f32_e32 v46, v40
	v_div_scale_f32 v27, s0, v34, v13, v34
	v_fma_f32 v39, -v31, v36, 1.0
	v_dual_fmac_f32 v9, v17, v9 :: v_dual_fmac_f32 v35, v28, v35
	v_rcp_f32_e32 v17, v43
	v_div_scale_f32 v32, s1, v20, v13, v20
	v_div_scale_f32 v45, null, v14, v14, v11
	s_delay_alu instid0(VALU_DEP_3)
	v_dual_fmac_f32 v36, v39, v36 :: v_dual_mul_f32 v28, v24, v9
	v_mul_f32_e32 v47, v27, v35
	v_fma_f32 v48, -v40, v46, 1.0
	v_div_scale_f32 v39, null, v42, v42, v5
	v_rcp_f32_e32 v49, v45
	v_fma_f32 v50, -v18, v28, v24
	v_dual_mul_f32 v52, v32, v36 :: v_dual_fma_f32 v53, -v26, v47, v27
	v_fmac_f32_e32 v46, v48, v46
	v_fma_f32 v48, -v43, v17, 1.0
	s_delay_alu instid0(VALU_DEP_4) | instskip(NEXT) | instid1(VALU_DEP_4)
	v_fmac_f32_e32 v28, v50, v9
	v_dual_fma_f32 v50, -v31, v52, v32 :: v_dual_fmac_f32 v47, v53, v35
	v_fma_f32 v53, -v45, v49, 1.0
	s_delay_alu instid0(VALU_DEP_4)
	v_fmac_f32_e32 v17, v48, v17
	v_rcp_f32_e32 v48, v39
	v_div_scale_f32 v41, s2, v10, v13, v10
	v_div_scale_f32 v44, s3, v21, v14, v21
	v_dual_fmac_f32 v52, v50, v36 :: v_dual_fmac_f32 v49, v53, v49
	v_fma_f32 v18, -v18, v28, v24
	s_delay_alu instid0(TRANS32_DEP_1) | instskip(SKIP_4) | instid1(VALU_DEP_4)
	v_fma_f32 v24, -v39, v48, 1.0
	v_div_scale_f32 v50, s4, v11, v14, v11
	v_div_scale_f32 v53, s5, v5, v42, v5
	v_dual_fma_f32 v26, -v26, v47, v27 :: v_dual_mul_f32 v54, v41, v46
	v_dual_fma_f32 v31, -v31, v52, v32 :: v_dual_mul_f32 v32, v44, v17
	v_dual_fmac_f32 v48, v24, v48 :: v_dual_mul_f32 v55, v50, v49
	v_div_fmas_f32 v9, v18, v9, v28
	s_delay_alu instid0(VALU_DEP_3) | instskip(NEXT) | instid1(VALU_DEP_3)
	v_dual_fma_f32 v18, -v40, v54, v41 :: v_dual_fma_f32 v24, -v43, v32, v44
	v_mul_f32_e32 v28, v53, v48
	s_mov_b32 vcc_lo, s0
	s_delay_alu instid0(VALU_DEP_3) | instskip(SKIP_1) | instid1(VALU_DEP_3)
	v_div_fixup_f32 v9, v9, v13, v33
	v_div_fmas_f32 v26, v26, v35, v47
	v_dual_fmac_f32 v54, v18, v46 :: v_dual_fma_f32 v18, -v39, v28, v53
	v_dual_fma_f32 v27, -v45, v55, v50 :: v_dual_fmac_f32 v32, v24, v17
	s_delay_alu instid0(VALU_DEP_4) | instskip(NEXT) | instid1(VALU_DEP_4)
	v_add_f32_e32 v9, v9, v29
	v_div_fixup_f32 v24, v26, v13, v34
	s_delay_alu instid0(VALU_DEP_3) | instskip(NEXT) | instid1(VALU_DEP_4)
	v_dual_fma_f32 v26, -v40, v54, v41 :: v_dual_fmac_f32 v55, v27, v49
	v_fma_f32 v29, -v43, v32, v44
	s_delay_alu instid0(VALU_DEP_4)
	v_mov_b32_dpp v34, v9 row_ror:8 row_mask:0xf bank_mask:0xf
	v_fmac_f32_e32 v28, v18, v48
	s_mov_b32 vcc_lo, s3
	v_fma_f32 v33, -v45, v55, v50
	v_div_fmas_f32 v29, v29, v17, v32
	v_dual_sub_f32 v18, v9, v34 :: v_dual_add_f32 v27, v12, v24
	s_mov_b32 vcc_lo, s1
	v_fma_f32 v32, -v39, v28, v53
	v_div_fmas_f32 v31, v31, v36, v52
	s_mov_b32 vcc_lo, s5
	v_mov_b32_dpp v17, v27 row_ror:8 row_mask:0xf bank_mask:0xf
	v_div_fixup_f32 v9, v29, v14, v21
	v_div_fmas_f32 v21, v32, v48, v28
	s_mov_b32 vcc_lo, s2
	v_mov_b32_e32 v8, v13
	v_pk_mul_f32 v[28:29], v[12:13], v[16:17]
	v_div_fixup_f32 v28, v31, v13, v20
	v_mul_f32_e32 v31, v18, v18
	v_div_fmas_f32 v20, v26, v46, v54
	s_mov_b32 vcc_lo, s4
	v_div_fixup_f32 v21, v21, v42, v5
	v_div_fmas_f32 v32, v33, v49, v55
	v_dual_mul_f32 v35, v18, v31 :: v_dual_mov_b32 v12, v29
	v_dual_mul_f32 v24, v27, v16 :: v_dual_mul_f32 v33, v13, v18
	s_delay_alu instid0(VALU_DEP_2) | instskip(NEXT) | instid1(VALU_DEP_4)
	v_dual_add_f32 v9, v30, v9 :: v_dual_mul_f32 v5, v35, v16
	v_div_fixup_f32 v30, v32, v14, v11
	v_dual_add_f32 v32, v38, v21 :: v_dual_mul_f32 v36, v31, v16
	v_div_fixup_f32 v29, v20, v13, v10
	v_pk_add_f32 v[10:11], v[24:25], v[12:13] neg_lo:[0,1] neg_hi:[0,1]
	v_pk_mul_f32 v[20:21], v[18:19], v[4:5]
	s_delay_alu instid0(VALU_DEP_4) | instskip(SKIP_2) | instid1(VALU_DEP_3)
	v_dual_add_f32 v12, v28, v9 :: v_dual_add_f32 v5, v30, v32
	v_dual_mov_b32 v26, v13 :: v_dual_mov_b32 v24, v15
	v_dual_mul_f32 v19, v18, v35 :: v_dual_mul_f32 v30, v13, v36
	v_add_f32_e32 v5, v29, v5
	v_pk_mul_f32 v[10:11], v[20:21], v[10:11]
	s_delay_alu instid0(VALU_DEP_4) | instskip(SKIP_3) | instid1(VALU_DEP_4)
	v_pk_add_f32 v[20:21], v[26:27], v[16:17]
	v_mov_b32_dpp v28, v12 row_ror:8 row_mask:0xf bank_mask:0xf
	v_dual_mov_b32 v13, v14 :: v_dual_mov_b32 v29, v15
	v_mov_b32_dpp v25, v5 row_ror:8 row_mask:0xf bank_mask:0xf
	v_div_scale_f32 v32, null, v20, v20, v33
	s_delay_alu instid0(VALU_DEP_4) | instskip(SKIP_1) | instid1(VALU_DEP_4)
	v_add_f32_e32 v35, v12, v28
	v_div_scale_f32 v39, vcc_lo, v33, v20, v33
	v_pk_fma_f32 v[8:9], v[8:9], v[16:17], v[24:25] neg_lo:[1,0,0] neg_hi:[1,0,0]
	v_dual_mul_f32 v24, v19, v16 :: v_dual_add_f32 v5, v5, v25
	v_mov_b32_e32 v25, v20
	v_rcp_f32_e32 v36, v32
	s_delay_alu instid0(VALU_DEP_3) | instskip(SKIP_2) | instid1(VALU_DEP_2)
	v_pk_fma_f32 v[8:9], v[22:23], v[22:23], v[8:9]
	v_dual_mov_b32 v23, v20 :: v_dual_mov_b32 v19, v31
	v_div_scale_f32 v31, null, v20, v20, v30
	v_pk_mul_f32 v[14:15], v[22:23], v[24:25]
	s_delay_alu instid0(TRANS32_DEP_1) | instskip(NEXT) | instid1(VALU_DEP_3)
	v_fma_f32 v9, -v32, v36, 1.0
	v_rcp_f32_e32 v38, v31
	v_pk_mul_f32 v[22:23], v[26:27], v[28:29]
	v_pk_mul_f32 v[18:19], v[18:19], v[6:7]
	v_div_scale_f32 v40, null, v15, v15, v11
	v_fmac_f32_e32 v36, v9, v36
	s_delay_alu instid0(VALU_DEP_4) | instskip(NEXT) | instid1(TRANS32_DEP_1)
	v_pk_fma_f32 v[24:25], v[12:13], v[16:17], v[22:23] neg_lo:[0,0,1] neg_hi:[0,0,1]
	v_fma_f32 v9, -v31, v38, 1.0
	s_delay_alu instid0(VALU_DEP_4) | instskip(SKIP_2) | instid1(VALU_DEP_3)
	v_rcp_f32_e32 v27, v40
	v_pk_fma_f32 v[12:13], v[12:13], v[16:17], v[22:23]
	v_div_scale_f32 v17, null, v20, v20, v10
	v_dual_mul_f32 v26, v39, v36 :: v_dual_fmac_f32 v38, v9, v38
	v_div_scale_f32 v16, s0, v30, v20, v30
	s_delay_alu instid0(TRANS32_DEP_1) | instskip(NEXT) | instid1(VALU_DEP_4)
	v_fma_f32 v9, -v40, v27, 1.0
	v_rcp_f32_e32 v23, v17
	s_delay_alu instid0(VALU_DEP_3) | instskip(NEXT) | instid1(VALU_DEP_2)
	v_dual_fma_f32 v12, -v32, v26, v39 :: v_dual_mov_b32 v25, v13
	v_dual_mul_f32 v22, v16, v38 :: v_dual_fmac_f32 v27, v9, v27
	v_div_scale_f32 v28, s1, v11, v15, v11
	s_delay_alu instid0(VALU_DEP_3) | instskip(NEXT) | instid1(VALU_DEP_4)
	v_fmac_f32_e32 v26, v12, v36
	v_pk_mul_f32 v[12:13], v[18:19], v[24:25]
	s_delay_alu instid0(VALU_DEP_4) | instskip(NEXT) | instid1(VALU_DEP_4)
	v_dual_mov_b32 v9, v20 :: v_dual_fma_f32 v19, -v31, v22, v16
	v_mul_f32_e32 v24, v28, v27
	v_fma_f32 v25, -v17, v23, 1.0
	s_delay_alu instid0(VALU_DEP_4) | instskip(NEXT) | instid1(VALU_DEP_3)
	v_div_scale_f32 v29, null, v15, v15, v13
	v_dual_fmac_f32 v22, v19, v38 :: v_dual_fma_f32 v19, -v40, v24, v28
	s_delay_alu instid0(VALU_DEP_3) | instskip(SKIP_4) | instid1(VALU_DEP_4)
	v_fmac_f32_e32 v23, v25, v23
	v_fma_f32 v18, -v32, v26, v39
	v_pk_mul_f32 v[8:9], v[8:9], v[14:15]
	v_div_scale_f32 v25, s2, v10, v20, v10
	v_fmac_f32_e32 v24, v19, v27
	v_div_fmas_f32 v18, v18, v36, v26
	v_fma_f32 v16, -v31, v22, v16
	v_div_scale_f32 v19, null, v9, v9, v8
	s_mov_b32 vcc_lo, s0
	v_div_fixup_f32 v14, v18, v20, v33
	v_mul_f32_e32 v18, v25, v23
	v_div_fmas_f32 v16, v16, v38, v22
	s_mov_b32 vcc_lo, s1
	v_div_scale_f32 v32, s1, v12, v20, v12
	v_dual_add_f32 v26, v14, v34 :: v_dual_fma_f32 v14, -v40, v24, v28
	v_rcp_f32_e32 v28, v19
	v_fma_f32 v22, -v17, v18, v25
	v_div_fixup_f32 v16, v16, v20, v30
	ds_swizzle_b32 v33, v26 offset:swizzle(BROADCAST,32,15)
	v_div_fmas_f32 v14, v14, v27, v24
	v_div_scale_f32 v27, null, v20, v20, v12
	v_dual_fmac_f32 v18, v22, v23 :: v_dual_add_f32 v30, v21, v16
	v_fma_f32 v22, -v19, v28, 1.0
	ds_swizzle_b32 v16, v20 offset:swizzle(BROADCAST,32,15)
	v_div_fixup_f32 v11, v14, v15, v11
	v_fma_f32 v14, -v17, v18, v25
	ds_swizzle_b32 v17, v30 offset:swizzle(BROADCAST,32,15)
	v_fmac_f32_e32 v28, v22, v28
	v_div_scale_f32 v22, s0, v8, v9, v8
	v_rcp_f32_e32 v25, v27
	s_mov_b32 vcc_lo, s2
	v_add_f32_e32 v24, v35, v11
	v_div_fmas_f32 v14, v14, v23, v18
	v_dual_mul_f32 v23, v22, v28 :: v_dual_mov_b32 v11, v20
	v_rcp_f32_e32 v31, v29
	s_delay_alu instid0(TRANS32_DEP_2) | instskip(NEXT) | instid1(VALU_DEP_3)
	v_fma_f32 v18, -v27, v25, 1.0
	v_div_fixup_f32 v14, v14, v20, v10
	s_delay_alu instid0(VALU_DEP_3) | instskip(SKIP_1) | instid1(VALU_DEP_3)
	v_fma_f32 v10, -v19, v23, v22
	s_mov_b32 vcc_lo, s0
	v_fmac_f32_e32 v25, v18, v25
	s_delay_alu instid0(VALU_DEP_3) | instskip(SKIP_3) | instid1(VALU_DEP_2)
	v_add_f32_e32 v14, v14, v24
	s_wait_dscnt 0x1
	v_dual_fmac_f32 v23, v10, v28 :: v_dual_mov_b32 v10, v16
	v_fma_f32 v35, -v29, v31, 1.0
	v_dual_mul_f32 v34, v32, v25 :: v_dual_fma_f32 v24, -v19, v23, v22
	s_wait_dscnt 0x0
	s_delay_alu instid0(VALU_DEP_3) | instskip(NEXT) | instid1(VALU_DEP_2)
	v_pk_mul_f32 v[18:19], v[10:11], v[16:17] op_sel_hi:[1,0]
	v_fma_f32 v36, -v27, v34, v32
	s_delay_alu instid0(VALU_DEP_2)
	v_mov_b32_e32 v22, v19
	v_div_fmas_f32 v19, v24, v28, v23
	v_sub_f32_e32 v24, v26, v33
	s_mov_b32 vcc_lo, s1
	v_cmp_lt_f32_e64 s1, v37, v51
	v_pk_fma_f32 v[10:11], v[10:11], v[16:17], v[22:23] op_sel_hi:[1,0,1] neg_lo:[0,0,1] neg_hi:[0,0,1]
	v_dual_mov_b32 v23, v20 :: v_dual_fmac_f32 v31, v35, v31
	v_fmac_f32_e32 v34, v36, v25
	v_div_scale_f32 v35, s2, v13, v15, v13
	v_dual_mov_b32 v22, v15 :: v_dual_mov_b32 v11, v16
	v_div_fixup_f32 v19, v19, v9, v8
	s_delay_alu instid0(VALU_DEP_3) | instskip(SKIP_1) | instid1(VALU_DEP_4)
	v_mul_f32_e32 v28, v35, v31
	v_dual_fma_f32 v26, -v27, v34, v32 :: v_dual_mul_f32 v36, v24, v24
	v_pk_add_f32 v[8:9], v[22:23], v[10:11]
	s_delay_alu instid0(VALU_DEP_4) | instskip(NEXT) | instid1(VALU_DEP_4)
	v_add_f32_e32 v19, v5, v19
	v_fma_f32 v27, -v29, v28, v35
	v_mul_f32_e32 v32, v20, v24
	v_div_fmas_f32 v10, v26, v25, v34
	v_mov_b32_e32 v11, v9
	s_mov_b32 vcc_lo, s2
	v_fmac_f32_e32 v28, v27, v31
	v_div_scale_f32 v34, null, v9, v9, v32
	v_div_fixup_f32 v38, v10, v20, v12
	v_mul_f32_e32 v12, v36, v16
	s_delay_alu instid0(VALU_DEP_4) | instskip(NEXT) | instid1(VALU_DEP_4)
	v_dual_fma_f32 v5, -v29, v28, v35 :: v_dual_mov_b32 v10, v20
	v_rcp_f32_e32 v35, v34
	s_delay_alu instid0(VALU_DEP_2) | instskip(SKIP_1) | instid1(VALU_DEP_3)
	v_dual_mov_b32 v29, v9 :: v_dual_mul_f32 v39, v20, v12
	v_mov_b32_e32 v12, v17
	v_div_fmas_f32 v31, v5, v31, v28
	s_delay_alu instid0(VALU_DEP_3) | instskip(NEXT) | instid1(TRANS32_DEP_1)
	v_div_scale_f32 v40, null, v9, v9, v39
	v_fma_f32 v23, -v34, v35, 1.0
	v_mul_f32_e32 v5, v24, v36
	v_pk_mul_f32 v[26:27], v[20:21], v[12:13]
	s_delay_alu instid0(VALU_DEP_4) | instskip(NEXT) | instid1(VALU_DEP_3)
	v_rcp_f32_e32 v41, v40
	v_dual_mov_b32 v27, v20 :: v_dual_fmac_f32 v35, v23, v35
	s_delay_alu instid0(VALU_DEP_3) | instskip(SKIP_3) | instid1(TRANS32_DEP_1)
	v_dual_mul_f32 v22, v30, v16 :: v_dual_mul_f32 v12, v24, v5
	v_dual_mul_f32 v25, v5, v16 :: v_dual_mov_b32 v5, v20
	v_mov_b32_e32 v23, v16
	v_div_scale_f32 v21, vcc_lo, v32, v9, v32
	v_fma_f32 v42, -v40, v41, 1.0
	v_mul_f32_e32 v28, v12, v16
	v_pk_mul_f32 v[4:5], v[4:5], v[24:25]
	v_pk_add_f32 v[22:23], v[22:23], v[26:27] neg_lo:[0,1] neg_hi:[0,1]
	v_div_fixup_f32 v12, v31, v15, v13
	v_dual_mul_f32 v25, v21, v35 :: v_dual_fmac_f32 v41, v42, v41
	v_pk_mul_f32 v[10:11], v[10:11], v[28:29]
	s_delay_alu instid0(VALU_DEP_4) | instskip(SKIP_1) | instid1(VALU_DEP_4)
	v_pk_mul_f32 v[4:5], v[4:5], v[22:23]
	v_div_scale_f32 v22, s0, v39, v9, v39
	v_dual_add_f32 v13, v12, v19 :: v_dual_fma_f32 v19, -v34, v25, v21
	ds_swizzle_b32 v12, v14 offset:swizzle(BROADCAST,32,15)
	v_mul_f32_e32 v27, v22, v41
	v_div_scale_f32 v26, null, v11, v11, v5
	v_dual_fmac_f32 v25, v19, v35 :: v_dual_add_f32 v28, v38, v13
	s_delay_alu instid0(VALU_DEP_3) | instskip(NEXT) | instid1(VALU_DEP_3)
	v_fma_f32 v13, -v40, v27, v22
	v_rcp_f32_e32 v29, v26
	v_cndmask_b32_e64 v31, v51, v37, s1
	ds_swizzle_b32 v37, v28 offset:swizzle(BROADCAST,32,15)
	v_dual_fmac_f32 v27, v13, v41 :: v_dual_mov_b32 v13, v18
	v_fma_f32 v19, -v34, v25, v21
	v_mov_b32_e32 v21, v30
	v_div_scale_f32 v34, null, v9, v9, v4
	v_fma_f32 v23, -v26, v29, 1.0
	v_fma_f32 v38, -v40, v27, v22
	v_div_fmas_f32 v35, v19, v35, v25
	s_wait_dscnt 0x1
	v_pk_mul_f32 v[18:19], v[20:21], v[12:13]
	v_rcp_f32_e32 v40, v34
	v_dual_fmac_f32 v29, v23, v29 :: v_dual_mov_b32 v25, v36
	v_pk_mul_f32 v[22:23], v[8:9], v[10:11]
	s_delay_alu instid0(VALU_DEP_3) | instskip(SKIP_2) | instid1(TRANS32_DEP_1)
	v_pk_fma_f32 v[20:21], v[14:15], v[16:17], v[18:19]
	v_pk_fma_f32 v[18:19], v[14:15], v[16:17], v[18:19] neg_lo:[0,0,1] neg_hi:[0,0,1]
	v_div_scale_f32 v13, s1, v5, v11, v5
	v_fma_f32 v20, -v34, v40, 1.0
	v_pk_mul_f32 v[6:7], v[24:25], v[6:7]
	v_mov_b32_e32 v19, v21
	v_div_scale_f32 v10, null, v23, v23, v22
	s_delay_alu instid0(VALU_DEP_4) | instskip(SKIP_1) | instid1(VALU_DEP_3)
	v_fmac_f32_e32 v40, v20, v40
	s_mov_b32 vcc_lo, s0
	v_pk_mul_f32 v[6:7], v[6:7], v[18:19]
	s_delay_alu instid0(VALU_DEP_3) | instskip(SKIP_2) | instid1(VALU_DEP_3)
	v_rcp_f32_e32 v16, v10
	v_div_fmas_f32 v19, v38, v41, v27
	v_div_scale_f32 v15, s2, v4, v9, v4
	v_div_scale_f32 v18, null, v9, v9, v6
	v_div_scale_f32 v27, null, v11, v11, v7
	s_delay_alu instid0(VALU_DEP_3) | instskip(NEXT) | instid1(VALU_DEP_3)
	v_dual_mul_f32 v8, v13, v29 :: v_dual_mul_f32 v25, v15, v40
	v_rcp_f32_e32 v24, v18
	v_fma_f32 v21, -v10, v16, 1.0
	s_delay_alu instid0(VALU_DEP_3) | instskip(NEXT) | instid1(VALU_DEP_2)
	v_rcp_f32_e32 v38, v27
	v_fma_f32 v20, -v26, v8, v13
	s_mov_b32 vcc_lo, s1
	s_delay_alu instid0(VALU_DEP_2) | instskip(SKIP_3) | instid1(VALU_DEP_3)
	v_fmac_f32_e32 v16, v21, v16
	v_div_scale_f32 v21, s0, v22, v23, v22
	v_fma_f32 v36, -v18, v24, 1.0
	v_fmac_f32_e32 v8, v20, v29
	v_dual_fma_f32 v20, -v34, v25, v15 :: v_dual_mul_f32 v41, v21, v16
	v_fma_f32 v42, -v27, v38, 1.0
	s_delay_alu instid0(VALU_DEP_4) | instskip(SKIP_2) | instid1(VALU_DEP_4)
	v_fmac_f32_e32 v24, v36, v24
	v_div_scale_f32 v36, s3, v6, v9, v6
	v_fma_f32 v13, -v26, v8, v13
	v_dual_fmac_f32 v25, v20, v40 :: v_dual_fmac_f32 v38, v42, v38
	s_delay_alu instid0(VALU_DEP_3) | instskip(SKIP_1) | instid1(VALU_DEP_4)
	v_dual_fma_f32 v20, -v10, v41, v21 :: v_dual_mul_f32 v26, v36, v24
	v_div_scale_f32 v42, s4, v7, v11, v7
	v_div_fmas_f32 v8, v13, v29, v8
	s_delay_alu instid0(VALU_DEP_3) | instskip(NEXT) | instid1(VALU_DEP_4)
	v_dual_fma_f32 v13, -v34, v25, v15 :: v_dual_fmac_f32 v41, v20, v16
	v_fma_f32 v15, -v18, v26, v36
	s_delay_alu instid0(VALU_DEP_4)
	v_mul_f32_e32 v20, v42, v38
	s_mov_b32 vcc_lo, s2
	v_div_fixup_f32 v5, v8, v11, v5
	v_div_fmas_f32 v13, v13, v40, v25
	v_dual_fmac_f32 v26, v15, v24 :: v_dual_fma_f32 v10, -v10, v41, v21
	v_fma_f32 v21, -v27, v20, v42
	s_mov_b32 vcc_lo, s0
	v_add_f32_e32 v15, v30, v17
	s_delay_alu instid0(VALU_DEP_3)
	v_fma_f32 v17, -v18, v26, v36
	v_div_fmas_f32 v10, v10, v16, v41
	s_wait_dscnt 0x0
	v_dual_fmac_f32 v20, v21, v38 :: v_dual_add_f32 v16, v28, v37
	s_mov_b32 vcc_lo, s3
	v_div_fixup_f32 v4, v13, v9, v4
	v_div_fixup_f32 v10, v10, v23, v22
	s_delay_alu instid0(VALU_DEP_3)
	v_fma_f32 v18, -v27, v20, v42
	v_div_fmas_f32 v17, v17, v24, v26
	s_mov_b32 vcc_lo, s4
	s_mov_b32 s0, exec_lo
	v_add_f32_e32 v8, v16, v10
	v_div_fmas_f32 v18, v18, v38, v20
	v_cmp_gt_f32_e32 vcc_lo, v1, v3
	v_add_f32_e32 v12, v14, v12
	v_div_fixup_f32 v14, v35, v9, v32
	v_div_fixup_f32 v10, v19, v9, v39
	;; [unrolled: 1-line block ×4, first 2 shown]
	v_cndmask_b32_e32 v1, v3, v1, vcc_lo
	v_add_f32_e32 v5, v12, v5
	v_dual_add_f32 v3, v14, v33 :: v_dual_add_f32 v10, v15, v10
	v_add_f32_e32 v7, v7, v8
	ds_bpermute_b32 v11, v2, v9 offset:124
	v_add_f32_e32 v4, v4, v5
	ds_bpermute_b32 v8, v2, v31 offset:124
	ds_bpermute_b32 v9, v2, v1 offset:124
	v_add_f32_e32 v5, v6, v7
	ds_bpermute_b32 v7, v2, v3 offset:124
	ds_bpermute_b32 v12, v2, v10 offset:124
	;; [unrolled: 1-line block ×3, first 2 shown]
	v_mbcnt_lo_u32_b32 v1, -1, 0
	ds_bpermute_b32 v10, v2, v5 offset:124
	v_cmpx_eq_u32_e32 0, v1
	s_cbranch_execz .LBB27_6
; %bb.5:
	v_lshrrev_b32_e32 v2, 5, v0
	s_delay_alu instid0(VALU_DEP_1)
	v_mul_u32_u24_e32 v2, 28, v2
	s_wait_dscnt 0x5
	ds_store_2addr_b32 v2, v11, v8 offset0:168 offset1:169
	s_wait_dscnt 0x4
	ds_store_2addr_b32 v2, v9, v7 offset0:170 offset1:171
	;; [unrolled: 2-line block ×3, first 2 shown]
	s_wait_dscnt 0x3
	ds_store_b32 v2, v10 offset:696
.LBB27_6:
	s_or_b32 exec_lo, exec_lo, s0
	s_delay_alu instid0(SALU_CYCLE_1)
	s_mov_b32 s5, exec_lo
	s_wait_dscnt 0x0
	s_barrier_signal -1
	s_barrier_wait -1
	v_cmpx_gt_u32_e32 32, v0
	s_cbranch_execz .LBB27_8
; %bb.7:
	v_and_b32_e32 v18, 7, v1
	s_delay_alu instid0(VALU_DEP_1) | instskip(SKIP_1) | instid1(VALU_DEP_1)
	v_cmp_ne_u32_e32 vcc_lo, 7, v18
	v_add_co_ci_u32_e64 v3, null, 0, v1, vcc_lo
	v_lshlrev_b32_e32 v19, 2, v3
	v_mul_u32_u24_e32 v2, 28, v18
	v_cmp_gt_u32_e32 vcc_lo, 6, v18
	ds_load_2addr_b32 v[4:5], v2 offset0:168 offset1:171
	ds_load_b32 v22, v2 offset:696
	ds_load_2addr_b32 v[8:9], v2 offset0:169 offset1:170
	ds_load_2addr_b32 v[12:13], v2 offset0:172 offset1:173
	v_mov_b64_e32 v[2:3], 0x40c0000040800000
	s_wait_dscnt 0x2
	ds_bpermute_b32 v25, v19, v22
	ds_bpermute_b32 v7, v19, v4
	;; [unrolled: 1-line block ×3, first 2 shown]
	v_dual_mov_b32 v10, v5 :: v_dual_mov_b32 v11, v4
	v_mov_b32_e32 v18, v5
	s_wait_dscnt 0x3
	ds_bpermute_b32 v21, v19, v12
	ds_bpermute_b32 v20, v19, v13
	s_wait_dscnt 0x3
	v_dual_mov_b32 v23, v12 :: v_dual_mov_b32 v24, v7
	v_sub_f32_e32 v35, v4, v7
	s_wait_dscnt 0x2
	v_pk_add_f32 v[14:15], v[6:7], v[10:11] neg_lo:[0,1] neg_hi:[0,1]
	v_lshlrev_b32_e32 v15, 2, v1
	v_pk_add_f32 v[16:17], v[10:11], v[6:7]
	ds_bpermute_b32 v16, v19, v8
	v_cndmask_b32_e64 v10, 0, 2, vcc_lo
	v_mul_f32_e32 v31, v14, v7
	v_dual_mul_f32 v11, v4, v4 :: v_dual_bitop2_b32 v38, 16, v15 bitop3:0x54
	ds_bpermute_b32 v15, v19, v9
	v_add_f32_e32 v37, v22, v25
	v_div_scale_f32 v29, null, v17, v17, v31
	v_div_scale_f32 v25, vcc_lo, v31, v17, v31
	v_add_lshl_u32 v36, v10, v1, 2
	s_delay_alu instid0(VALU_DEP_3)
	v_rcp_f32_e32 v5, v29
	v_pk_mul_f32 v[26:27], v[6:7], v[6:7]
	s_wait_dscnt 0x3
	v_dual_mov_b32 v28, v21 :: v_dual_mov_b32 v26, v7
	s_wait_dscnt 0x2
	v_dual_mov_b32 v10, v4 :: v_dual_add_f32 v22, v13, v20
	v_mov_b32_e32 v30, v7
	v_fma_f32 v19, -v29, v5, 1.0
	v_dual_mov_b32 v34, v17 :: v_dual_mov_b32 v1, v4
	v_mov_b32_e32 v33, v17
	s_wait_dscnt 0x0
	v_cmp_lt_f32_e64 s0, v9, v15
	v_dual_fmac_f32 v5, v19, v5 :: v_dual_fma_f32 v19, -v4, v7, v11
	s_delay_alu instid0(VALU_DEP_2) | instskip(SKIP_1) | instid1(VALU_DEP_3)
	v_cndmask_b32_e64 v39, v9, v15, s0
	v_cmp_lt_f32_e64 s0, v16, v8
	v_dual_mul_f32 v6, v25, v5 :: v_dual_mov_b32 v9, v7
	s_delay_alu instid0(VALU_DEP_4) | instskip(SKIP_1) | instid1(VALU_DEP_4)
	v_add_f32_e32 v41, v27, v19
	v_pk_mul_f32 v[26:27], v[12:13], v[26:27] op_sel:[1,0] op_sel_hi:[0,1]
	v_cndmask_b32_e64 v40, v8, v16, s0
	ds_bpermute_b32 v16, v36, v17
	v_fma_f32 v8, -v29, v6, v25
	ds_bpermute_b32 v43, v36, v39
	v_pk_fma_f32 v[10:11], v[10:11], v[20:21], v[26:27]
	ds_bpermute_b32 v42, v36, v40
	v_fmac_f32_e32 v6, v8, v5
	v_mul_f32_e32 v8, 0x40400000, v14
	s_delay_alu instid0(VALU_DEP_2) | instskip(SKIP_1) | instid1(VALU_DEP_2)
	v_fma_f32 v15, -v29, v6, v25
	v_dual_mov_b32 v25, v17 :: v_dual_mov_b32 v29, v14
	v_div_fmas_f32 v6, v15, v5, v6
	s_wait_dscnt 0x2
	v_dual_mov_b32 v5, v14 :: v_dual_mov_b32 v19, v16
	s_delay_alu instid0(VALU_DEP_2) | instskip(NEXT) | instid1(VALU_DEP_2)
	v_div_fixup_f32 v32, v6, v17, v31
	v_pk_mul_f32 v[28:29], v[4:5], v[28:29]
	v_dual_mov_b32 v31, v17 :: v_dual_mov_b32 v6, v17
	s_wait_dscnt 0x1
	v_cmp_lt_f32_e32 vcc_lo, v39, v43
	v_pk_add_f32 v[18:19], v[18:19], v[32:33]
	v_pk_fma_f32 v[32:33], v[4:5], v[20:21], v[26:27] neg_lo:[0,0,1] neg_hi:[0,0,1]
	v_dual_mul_f32 v5, v14, v29 :: v_dual_mov_b32 v15, v29
	v_pk_mul_f32 v[26:27], v[28:29], v[0:1]
	ds_bpermute_b32 v20, v36, v18
	v_pk_fma_f32 v[12:13], v[12:13], v[24:25], v[28:29] neg_lo:[1,0,0] neg_hi:[1,0,0]
	v_dual_mul_f32 v24, v4, v5 :: v_dual_mov_b32 v33, v11
	v_dual_mul_f32 v1, v14, v5 :: v_dual_mov_b32 v13, v27
	v_pk_mul_f32 v[10:11], v[14:15], v[2:3]
	v_pk_mul_f32 v[14:15], v[16:17], v[16:17] op_sel_hi:[1,0]
	s_delay_alu instid0(VALU_DEP_4) | instskip(NEXT) | instid1(VALU_DEP_4)
	v_pk_mul_f32 v[24:25], v[24:25], v[30:31]
	v_mul_f32_e32 v1, v4, v1
	v_pk_mul_f32 v[8:9], v[12:13], v[8:9]
	v_pk_mul_f32 v[4:5], v[10:11], v[32:33]
	v_dual_sub_f32 v44, v17, v16 :: v_dual_cndmask_b32 v39, v39, v43
	v_dual_sub_f32 v10, v25, v15 :: v_dual_mul_f32 v15, v35, v24
	v_dual_mov_b32 v26, v16 :: v_dual_mov_b32 v11, v16
	v_mov_b32_e32 v35, v19
	s_wait_dscnt 0x1
	v_cmp_lt_f32_e32 vcc_lo, v42, v40
	s_wait_dscnt 0x0
	v_sub_f32_e32 v12, v20, v18
	v_div_scale_f32 v20, null, v17, v17, v9
	v_div_scale_f32 v32, null, v17, v17, v8
	s_delay_alu instid0(VALU_DEP_3) | instskip(SKIP_3) | instid1(VALU_DEP_4)
	v_mul_f32_e32 v13, v12, v12
	v_dual_mul_f32 v30, v12, v16 :: v_dual_mov_b32 v29, v19
	v_dual_mul_f32 v1, v1, v7 :: v_dual_cndmask_b32 v40, v40, v42
	v_mul_f32_e32 v33, v17, v25
	v_mul_f32_e32 v24, v12, v13
	s_delay_alu instid0(VALU_DEP_4) | instskip(SKIP_2) | instid1(VALU_DEP_3)
	v_div_scale_f32 v31, null, v19, v19, v30
	v_add_f32_e32 v10, v14, v10
	v_rcp_f32_e32 v48, v20
	v_mul_f32_e32 v27, v17, v24
	s_delay_alu instid0(VALU_DEP_3)
	v_rcp_f32_e32 v45, v31
	v_mul_f32_e32 v28, v12, v24
	v_rcp_f32_e32 v49, v32
	v_div_scale_f32 v54, s4, v5, v25, v5
	v_mul_f32_e32 v7, v27, v16
	v_mov_b32_e32 v27, v19
	v_pk_mul_f32 v[28:29], v[34:35], v[28:29]
	v_fma_f32 v24, -v31, v45, 1.0
	v_fma_f32 v52, -v20, v48, 1.0
	v_mul_f32_e32 v34, v44, v7
	v_div_scale_f32 v7, vcc_lo, v30, v19, v30
	v_pk_mul_f32 v[26:27], v[28:29], v[26:27]
	v_fmac_f32_e32 v45, v24, v45
	s_delay_alu instid0(VALU_DEP_4) | instskip(SKIP_1) | instid1(VALU_DEP_4)
	v_div_scale_f32 v24, null, v29, v29, v34
	v_div_scale_f32 v28, null, v25, v25, v15
	v_mul_f32_e32 v44, v10, v26
	s_delay_alu instid0(VALU_DEP_3)
	v_rcp_f32_e32 v26, v24
	v_div_scale_f32 v35, s0, v15, v25, v15
	ds_bpermute_b32 v43, v38, v39
	v_div_scale_f32 v46, null, v27, v27, v44
	ds_bpermute_b32 v42, v38, v40
	v_fma_f32 v50, -v24, v26, 1.0
	v_mul_f32_e32 v10, v7, v45
	v_rcp_f32_e32 v51, v46
	v_fmac_f32_e32 v48, v52, v48
	v_fma_f32 v52, -v32, v49, 1.0
	v_fmac_f32_e32 v26, v50, v26
	v_fma_f32 v47, -v31, v10, v7
	v_rcp_f32_e32 v50, v28
	v_mul_f32_e32 v1, v41, v1
	s_delay_alu instid0(VALU_DEP_2) | instskip(SKIP_1) | instid1(VALU_DEP_1)
	v_fmac_f32_e32 v10, v47, v45
	v_div_scale_f32 v47, s1, v34, v29, v34
	v_mul_f32_e32 v53, v47, v26
	s_delay_alu instid0(VALU_DEP_3) | instskip(SKIP_1) | instid1(VALU_DEP_2)
	v_fma_f32 v7, -v31, v10, v7
	v_fma_f32 v31, -v46, v51, 1.0
	v_div_fmas_f32 v7, v7, v45, v10
	v_fma_f32 v10, -v28, v50, 1.0
	s_delay_alu instid0(VALU_DEP_3) | instskip(SKIP_2) | instid1(VALU_DEP_4)
	v_fmac_f32_e32 v51, v31, v51
	v_fma_f32 v31, -v24, v53, v47
	v_div_scale_f32 v45, s2, v44, v27, v44
	v_dual_fmac_f32 v50, v10, v50 :: v_dual_fmac_f32 v49, v52, v49
	s_delay_alu instid0(VALU_DEP_2) | instskip(SKIP_2) | instid1(VALU_DEP_2)
	v_dual_fmac_f32 v53, v31, v26 :: v_dual_mul_f32 v10, v45, v51
	s_mov_b32 vcc_lo, s1
	v_div_scale_f32 v31, s3, v9, v17, v9
	v_dual_fma_f32 v24, -v24, v53, v47 :: v_dual_fma_f32 v52, -v46, v10, v45
	v_mul_f32_e32 v47, v35, v50
	v_div_fixup_f32 v30, v7, v19, v30
	s_delay_alu instid0(VALU_DEP_3) | instskip(SKIP_1) | instid1(VALU_DEP_4)
	v_div_fmas_f32 v53, v24, v26, v53
	v_div_scale_f32 v26, s1, v8, v17, v8
	v_fma_f32 v24, -v28, v47, v35
	v_fmac_f32_e32 v10, v52, v51
	s_mov_b32 vcc_lo, s2
	v_div_scale_f32 v52, null, v25, v25, v5
	s_delay_alu instid0(VALU_DEP_3) | instskip(SKIP_1) | instid1(VALU_DEP_3)
	v_fmac_f32_e32 v47, v24, v50
	v_div_scale_f32 v55, s2, v1, v33, v1
	v_rcp_f32_e32 v41, v52
	v_div_fixup_f32 v34, v53, v29, v34
	s_delay_alu instid0(VALU_DEP_3) | instskip(SKIP_2) | instid1(VALU_DEP_2)
	v_dual_fma_f32 v28, -v28, v47, v35 :: v_dual_mul_f32 v35, v31, v48
	v_fma_f32 v24, -v46, v10, v45
	v_div_scale_f32 v45, null, v17, v17, v4
	v_div_fmas_f32 v46, v24, v51, v10
	v_mul_f32_e32 v10, v26, v49
	s_mov_b32 vcc_lo, s0
	v_fma_f32 v24, -v20, v35, v31
	v_div_fmas_f32 v28, v28, v50, v47
	v_rcp_f32_e32 v51, v45
	v_fma_f32 v50, -v32, v10, v26
	s_mov_b32 vcc_lo, s3
	v_fmac_f32_e32 v35, v24, v48
	v_div_scale_f32 v47, s0, v4, v17, v4
	s_delay_alu instid0(VALU_DEP_3) | instskip(SKIP_1) | instid1(VALU_DEP_2)
	v_fmac_f32_e32 v10, v50, v49
	v_div_scale_f32 v50, null, v33, v33, v1
	v_fma_f32 v24, -v32, v10, v26
	v_fma_f32 v26, -v52, v41, 1.0
	s_delay_alu instid0(VALU_DEP_1) | instskip(NEXT) | instid1(VALU_DEP_1)
	v_dual_fma_f32 v20, -v20, v35, v31 :: v_dual_fmac_f32 v41, v26, v41
	v_div_fmas_f32 v31, v20, v48, v35
	v_div_fixup_f32 v20, v28, v25, v15
	v_fma_f32 v15, -v45, v51, 1.0
	s_mov_b32 vcc_lo, s1
	v_rcp_f32_e32 v35, v50
	v_div_fixup_f32 v9, v31, v17, v9
	v_pk_add_f32 v[20:21], v[22:23], v[20:21]
	v_fmac_f32_e32 v51, v15, v51
	v_div_fmas_f32 v10, v24, v49, v10
	v_mul_f32_e32 v15, v54, v41
	ds_bpermute_b32 v31, v38, v19
	v_mov_b32_e32 v24, v17
	s_mov_b32 vcc_lo, s2
	v_div_fixup_f32 v8, v10, v17, v8
	v_fma_f32 v10, -v50, v35, 1.0
	v_mul_f32_e32 v22, v17, v13
	s_delay_alu instid0(VALU_DEP_3) | instskip(NEXT) | instid1(VALU_DEP_3)
	v_pk_add_f32 v[8:9], v[8:9], v[20:21]
	v_fmac_f32_e32 v35, v10, v35
	v_mul_f32_e32 v21, v47, v51
	s_delay_alu instid0(VALU_DEP_4) | instskip(SKIP_4) | instid1(VALU_DEP_3)
	v_dual_fma_f32 v10, -v52, v15, v54 :: v_dual_mul_f32 v20, v22, v16
	ds_bpermute_b32 v23, v36, v9
	v_dual_mul_f32 v22, v55, v35 :: v_dual_fma_f32 v26, -v45, v21, v47
	v_fmac_f32_e32 v15, v10, v41
	v_div_scale_f32 v48, null, v19, v19, v20
	v_fma_f32 v10, -v50, v22, v55
	s_delay_alu instid0(VALU_DEP_4) | instskip(NEXT) | instid1(VALU_DEP_3)
	v_dual_fmac_f32 v21, v26, v51 :: v_dual_mov_b32 v26, v19
	v_rcp_f32_e32 v49, v48
	v_fma_f32 v28, -v52, v15, v54
	s_delay_alu instid0(VALU_DEP_2) | instskip(SKIP_3) | instid1(TRANS32_DEP_1)
	v_dual_fmac_f32 v22, v10, v35 :: v_dual_fma_f32 v45, -v45, v21, v47
	v_dual_mov_b32 v7, v9 :: v_dual_mov_b32 v32, v19
	s_wait_dscnt 0x1
	v_sub_f32_e32 v52, v19, v31
	v_fma_f32 v47, -v48, v49, 1.0
	s_wait_dscnt 0x0
	v_dual_fma_f32 v50, -v50, v22, v55 :: v_dual_mov_b32 v10, v23
	s_delay_alu instid0(VALU_DEP_2) | instskip(SKIP_1) | instid1(VALU_DEP_3)
	v_fmac_f32_e32 v49, v47, v49
	v_div_scale_f32 v47, s1, v20, v19, v20
	v_pk_mul_f32 v[6:7], v[6:7], v[10:11]
	v_pk_add_f32 v[10:11], v[18:19], v[30:31]
	v_div_fmas_f32 v30, v50, v35, v22
	s_delay_alu instid0(VALU_DEP_4) | instskip(NEXT) | instid1(VALU_DEP_4)
	v_dual_mul_f32 v18, 0x40400000, v12 :: v_dual_mul_f32 v35, v47, v49
	v_sub_f32_e32 v7, v6, v7
	ds_bpermute_b32 v50, v38, v10
	s_mov_b32 vcc_lo, s4
	ds_bpermute_b32 v22, v36, v8
	v_div_fmas_f32 v41, v28, v41, v15
	s_mov_b32 vcc_lo, s0
	v_dual_mov_b32 v6, v31 :: v_dual_mul_f32 v7, v18, v7
	v_fma_f32 v15, -v48, v35, v47
	v_div_fmas_f32 v18, v45, v51, v21
	v_div_fixup_f32 v1, v30, v33, v1
	v_pk_mul_f32 v[12:13], v[12:13], v[2:3]
	v_div_scale_f32 v21, null, v19, v19, v7
	s_delay_alu instid0(VALU_DEP_4) | instskip(SKIP_3) | instid1(VALU_DEP_3)
	v_div_fixup_f32 v45, v18, v17, v4
	v_dual_mov_b32 v17, v14 :: v_dual_fmac_f32 v35, v15, v49
	v_div_fixup_f32 v5, v41, v25, v5
	v_dual_mov_b32 v18, v31 :: v_dual_mov_b32 v28, v19
	v_pk_mul_f32 v[14:15], v[8:9], v[16:17]
	s_wait_dscnt 0x1
	v_dual_sub_f32 v4, v50, v10 :: v_dual_fma_f32 v47, -v48, v35, v47
	v_rcp_f32_e32 v48, v21
	s_wait_dscnt 0x0
	v_pk_add_f32 v[8:9], v[8:9], v[22:23]
	v_pk_fma_f32 v[16:17], v[24:25], v[22:23], v[14:15]
	v_pk_fma_f32 v[14:15], v[24:25], v[22:23], v[14:15] neg_lo:[0,0,1] neg_hi:[0,0,1]
	v_div_scale_f32 v16, vcc_lo, v7, v19, v7
	s_delay_alu instid0(VALU_DEP_4) | instskip(SKIP_1) | instid1(VALU_DEP_1)
	v_add_f32_e32 v33, v8, v34
	v_fma_f32 v30, -v21, v48, 1.0
	v_dual_mul_f32 v50, v4, v31 :: v_dual_fmac_f32 v48, v30, v48
	v_mov_b32_e32 v15, v17
	s_delay_alu instid0(VALU_DEP_2) | instskip(SKIP_1) | instid1(VALU_DEP_4)
	v_div_scale_f32 v24, null, v11, v11, v50
	v_div_scale_f32 v51, s0, v50, v11, v50
	v_mul_f32_e32 v17, v16, v48
	s_delay_alu instid0(VALU_DEP_4) | instskip(NEXT) | instid1(VALU_DEP_4)
	v_pk_mul_f32 v[12:13], v[12:13], v[14:15]
	v_rcp_f32_e32 v25, v24
	s_delay_alu instid0(VALU_DEP_2) | instskip(NEXT) | instid1(VALU_DEP_2)
	v_dual_mov_b32 v30, v4 :: v_dual_fma_f32 v14, -v21, v17, v16
	v_div_scale_f32 v23, null, v19, v19, v12
	v_add_f32_e32 v1, v37, v1
	v_div_scale_f32 v37, null, v29, v29, v13
	s_delay_alu instid0(VALU_DEP_3) | instskip(SKIP_2) | instid1(VALU_DEP_3)
	v_rcp_f32_e32 v34, v23
	v_fmac_f32_e32 v17, v14, v48
	v_fma_f32 v14, -v24, v25, 1.0
	v_rcp_f32_e32 v41, v37
	v_add_f32_e32 v1, v5, v1
	v_div_scale_f32 v53, s3, v13, v29, v13
	s_delay_alu instid0(VALU_DEP_3) | instskip(SKIP_2) | instid1(TRANS32_DEP_1)
	v_fmac_f32_e32 v25, v14, v25
	v_fma_f32 v14, -v23, v34, 1.0
	v_fma_f32 v8, -v21, v17, v16
	v_fma_f32 v15, -v37, v41, 1.0
	v_mov_b32_e32 v16, v9
	s_delay_alu instid0(VALU_DEP_4) | instskip(NEXT) | instid1(VALU_DEP_4)
	v_dual_add_f32 v1, v45, v1 :: v_dual_fmac_f32 v34, v14, v34
	v_div_fmas_f32 v8, v8, v48, v17
	v_div_scale_f32 v48, s2, v12, v19, v12
	v_fmac_f32_e32 v41, v15, v41
	s_mov_b32 vcc_lo, s1
	s_delay_alu instid0(VALU_DEP_3) | instskip(NEXT) | instid1(VALU_DEP_3)
	v_div_fixup_f32 v21, v8, v19, v7
	v_mul_f32_e32 v5, v48, v34
	v_pk_mul_f32 v[6:7], v[18:19], v[6:7] op_sel_hi:[1,0]
	v_div_fmas_f32 v18, v47, v49, v35
	v_mov_b32_e32 v8, v19
	v_pk_add_f32 v[14:15], v[20:21], v[32:33]
	v_mul_f32_e32 v32, v51, v25
	s_mov_b32 vcc_lo, s2
	v_sub_f32_e32 v7, v29, v7
	ds_bpermute_b32 v17, v38, v15
	v_dual_fma_f32 v14, -v24, v32, v51 :: v_dual_mul_f32 v33, v53, v41
	s_delay_alu instid0(VALU_DEP_1) | instskip(SKIP_1) | instid1(VALU_DEP_3)
	v_dual_mov_b32 v22, v31 :: v_dual_fmac_f32 v32, v14, v25
	v_fma_f32 v21, -v23, v5, v48
	v_fma_f32 v35, -v37, v33, v53
	v_div_fixup_f32 v14, v18, v19, v20
	s_delay_alu instid0(VALU_DEP_3) | instskip(NEXT) | instid1(VALU_DEP_3)
	v_dual_fma_f32 v18, -v24, v32, v51 :: v_dual_fmac_f32 v5, v21, v34
	v_fmac_f32_e32 v33, v35, v41
	v_mov_b32_e32 v24, v31
	ds_bpermute_b32 v9, v36, v1
	v_dual_fma_f32 v35, -v37, v33, v53 :: v_dual_mov_b32 v37, v11
	s_wait_dscnt 0x1
	v_pk_add_f32 v[20:21], v[14:15], v[16:17]
	v_fma_f32 v23, -v23, v5, v48
	s_delay_alu instid0(VALU_DEP_1) | instskip(NEXT) | instid1(VALU_DEP_3)
	v_div_fmas_f32 v14, v23, v34, v5
	v_mov_b32_e32 v5, v20
	s_mov_b32 vcc_lo, s3
	v_mul_f32_e32 v23, 0x40400000, v4
	v_div_fmas_f32 v16, v35, v41, v33
	ds_bpermute_b32 v33, v38, v20
	v_pk_mul_f32 v[34:35], v[4:5], v[30:31]
	s_mov_b32 vcc_lo, s0
	v_div_fmas_f32 v18, v18, v25, v32
	s_delay_alu instid0(VALU_DEP_2) | instskip(SKIP_2) | instid1(VALU_DEP_3)
	v_dual_mov_b32 v25, v6 :: v_dual_mul_f32 v32, v4, v34
	s_wait_dscnt 0x1
	v_dual_add_f32 v6, v6, v7 :: v_dual_add_f32 v1, v1, v9
	v_div_fixup_f32 v7, v18, v11, v50
	v_div_fixup_f32 v18, v46, v27, v44
	v_dual_mul_f32 v27, v19, v32 :: v_dual_mul_f32 v36, v4, v32
	v_div_fixup_f32 v16, v16, v29, v13
	s_delay_alu instid0(VALU_DEP_4) | instskip(NEXT) | instid1(VALU_DEP_3)
	v_dual_add_f32 v7, v10, v7 :: v_dual_mov_b32 v10, v19
	v_dual_mul_f32 v9, v27, v31 :: v_dual_add_f32 v1, v1, v18
	v_div_fixup_f32 v18, v14, v19, v12
	v_mov_b32_e32 v14, v15
	s_delay_alu instid0(VALU_DEP_4) | instskip(NEXT) | instid1(VALU_DEP_4)
	v_pk_mul_f32 v[12:13], v[10:11], v[36:37]
	v_mul_f32_e32 v27, v52, v9
	s_wait_dscnt 0x0
	v_dual_mul_f32 v9, v19, v33 :: v_dual_mov_b32 v15, v20
	v_dual_add_f32 v1, v16, v1 :: v_dual_mov_b32 v10, v31
	v_mov_b32_e32 v32, v17
	v_div_scale_f32 v36, null, v13, v13, v27
	s_delay_alu instid0(VALU_DEP_4) | instskip(NEXT) | instid1(VALU_DEP_4)
	v_pk_fma_f32 v[8:9], v[4:5], v[30:31], v[8:9] neg_lo:[1,0,0] neg_hi:[1,0,0]
	v_add_f32_e32 v1, v18, v1
	v_pk_mul_f32 v[18:19], v[26:27], v[34:35]
	s_delay_alu instid0(VALU_DEP_4) | instskip(NEXT) | instid1(VALU_DEP_3)
	v_rcp_f32_e32 v26, v36
	v_mov_b32_e32 v19, v9
	v_pk_mul_f32 v[8:9], v[14:15], v[24:25]
	ds_bpermute_b32 v30, v38, v1
	v_pk_mul_f32 v[14:15], v[18:19], v[22:23]
	v_fma_f32 v16, -v36, v26, 1.0
	v_mov_b32_e32 v5, v34
	v_pk_mul_f32 v[18:19], v[12:13], v[10:11]
	v_div_scale_f32 v12, vcc_lo, v27, v13, v27
	v_div_scale_f32 v10, null, v11, v11, v15
	v_fmac_f32_e32 v26, v16, v26
	v_pk_mul_f32 v[2:3], v[4:5], v[2:3]
	v_mov_b32_e32 v4, v17
	v_pk_fma_f32 v[16:17], v[28:29], v[32:33], v[8:9]
	v_rcp_f32_e32 v16, v10
	v_div_scale_f32 v23, null, v11, v11, v14
	v_mul_f32_e32 v22, v12, v26
	v_pk_fma_f32 v[4:5], v[28:29], v[4:5], v[8:9] neg_lo:[0,0,1] neg_hi:[0,0,1]
	v_mov_b32_e32 v5, v17
	s_delay_alu instid0(VALU_DEP_4) | instskip(NEXT) | instid1(TRANS32_DEP_2)
	v_rcp_f32_e32 v17, v23
	v_fma_f32 v9, -v10, v16, 1.0
	v_fma_f32 v8, -v36, v22, v12
	v_mul_f32_e32 v6, v6, v18
	v_pk_mul_f32 v[2:3], v[2:3], v[4:5]
	v_div_scale_f32 v4, s0, v15, v11, v15
	v_fmac_f32_e32 v16, v9, v16
	v_fma_f32 v5, -v23, v17, 1.0
	v_fmac_f32_e32 v22, v8, v26
	v_div_scale_f32 v9, null, v19, v19, v6
	v_div_scale_f32 v24, null, v11, v11, v2
	s_delay_alu instid0(VALU_DEP_4) | instskip(SKIP_4) | instid1(VALU_DEP_3)
	v_fmac_f32_e32 v17, v5, v17
	v_div_scale_f32 v5, s1, v14, v11, v14
	v_fma_f32 v8, -v36, v22, v12
	v_rcp_f32_e32 v18, v9
	v_div_scale_f32 v29, null, v13, v13, v3
	v_mul_f32_e32 v28, v5, v17
	s_delay_alu instid0(VALU_DEP_3) | instskip(SKIP_1) | instid1(VALU_DEP_3)
	v_div_fmas_f32 v8, v8, v26, v22
	v_rcp_f32_e32 v26, v24
	v_rcp_f32_e32 v32, v29
	s_delay_alu instid0(TRANS32_DEP_3)
	v_fma_f32 v25, -v9, v18, 1.0
	v_mul_f32_e32 v12, v4, v16
	s_mov_b32 vcc_lo, s0
	s_wait_dscnt 0x0
	v_add_f32_e32 v1, v1, v30
	v_fmac_f32_e32 v18, v25, v18
	v_div_scale_f32 v25, s2, v6, v19, v6
	v_fma_f32 v22, -v10, v12, v4
	v_fma_f32 v31, -v24, v26, 1.0
	v_fma_f32 v35, -v29, v32, 1.0
	s_delay_alu instid0(VALU_DEP_3) | instskip(NEXT) | instid1(VALU_DEP_3)
	v_dual_mul_f32 v34, v25, v18 :: v_dual_fmac_f32 v12, v22, v16
	v_fmac_f32_e32 v26, v31, v26
	v_fma_f32 v22, -v23, v28, v5
	v_div_scale_f32 v31, s3, v2, v11, v2
	s_delay_alu instid0(VALU_DEP_4) | instskip(NEXT) | instid1(VALU_DEP_2)
	v_dual_fma_f32 v4, -v10, v12, v4 :: v_dual_fma_f32 v10, -v9, v34, v25
	v_dual_fmac_f32 v28, v22, v17 :: v_dual_mul_f32 v22, v31, v26
	v_fmac_f32_e32 v32, v35, v32
	v_div_scale_f32 v35, s4, v3, v13, v3
	s_delay_alu instid0(VALU_DEP_4) | instskip(NEXT) | instid1(VALU_DEP_4)
	v_div_fmas_f32 v12, v4, v16, v12
	v_dual_fma_f32 v4, -v23, v28, v5 :: v_dual_fmac_f32 v34, v10, v18
	s_delay_alu instid0(VALU_DEP_3) | instskip(SKIP_1) | instid1(VALU_DEP_2)
	v_dual_fma_f32 v5, -v24, v22, v31 :: v_dual_mul_f32 v10, v35, v32
	s_mov_b32 vcc_lo, s1
	v_div_fmas_f32 v16, v4, v17, v28
	s_delay_alu instid0(VALU_DEP_3) | instskip(NEXT) | instid1(VALU_DEP_3)
	v_fma_f32 v4, -v9, v34, v25
	v_fma_f32 v9, -v29, v10, v35
	s_mov_b32 vcc_lo, s2
	s_delay_alu instid0(VALU_DEP_1) | instskip(NEXT) | instid1(VALU_DEP_3)
	v_fmac_f32_e32 v10, v9, v32
	v_div_fmas_f32 v4, v4, v18, v34
	s_mov_b32 vcc_lo, s3
	s_delay_alu instid0(VALU_DEP_1) | instskip(NEXT) | instid1(VALU_DEP_3)
	v_div_fixup_f32 v6, v4, v19, v6
	v_fma_f32 v4, -v29, v10, v35
	s_delay_alu instid0(VALU_DEP_2) | instskip(SKIP_2) | instid1(VALU_DEP_2)
	v_add_f32_e32 v1, v1, v6
	v_fmac_f32_e32 v22, v5, v26
	v_div_fixup_f32 v5, v8, v13, v27
	v_fma_f32 v8, -v24, v22, v31
	s_delay_alu instid0(VALU_DEP_1)
	v_div_fmas_f32 v8, v8, v26, v22
	s_mov_b32 vcc_lo, s4
	v_div_fmas_f32 v9, v4, v32, v10
	v_mov_b32_e32 v4, v33
	v_cmp_lt_f32_e32 vcc_lo, v39, v43
	v_div_fixup_f32 v2, v8, v11, v2
	s_delay_alu instid0(VALU_DEP_4) | instskip(NEXT) | instid1(VALU_DEP_4)
	v_div_fixup_f32 v3, v9, v13, v3
	v_pk_add_f32 v[4:5], v[20:21], v[4:5]
	v_div_fixup_f32 v13, v12, v11, v15
	v_div_fixup_f32 v12, v16, v11, v14
	v_cndmask_b32_e32 v9, v39, v43, vcc_lo
	v_add_f32_e32 v1, v3, v1
	v_cmp_lt_f32_e32 vcc_lo, v42, v40
	s_delay_alu instid0(VALU_DEP_4) | instskip(NEXT) | instid1(VALU_DEP_3)
	v_pk_add_f32 v[12:13], v[12:13], v[4:5]
	v_dual_add_f32 v10, v2, v1 :: v_dual_cndmask_b32 v8, v40, v42, vcc_lo
.LBB27_8:
	s_or_b32 exec_lo, exec_lo, s5
	s_branch .LBB27_54
.LBB27_9:
	s_mov_b32 s28, 0
                                        ; implicit-def: $vgpr3
                                        ; implicit-def: $vgpr15
                                        ; implicit-def: $vgpr4_vgpr5
                                        ; implicit-def: $sgpr20_sgpr21
	s_cbranch_execnz .LBB27_91
	s_branch .LBB27_99
.LBB27_10:
	s_mov_b32 s27, -1
.LBB27_11:
	s_mov_b32 s28, 0
                                        ; implicit-def: $vgpr3
                                        ; implicit-def: $vgpr15
                                        ; implicit-def: $vgpr4_vgpr5
                                        ; implicit-def: $sgpr20_sgpr21
	s_and_b32 vcc_lo, exec_lo, s27
	s_cbranch_vccz .LBB27_59
.LBB27_12:
	s_cmp_eq_u32 s19, 2
	s_cbranch_scc0 .LBB27_19
; %bb.13:
	s_bfe_u32 s0, ttmp6, 0x4000c
	s_and_b32 s1, ttmp6, 15
	s_add_co_i32 s0, s0, 1
	s_getreg_b32 s2, hwreg(HW_REG_IB_STS2, 6, 4)
	s_mul_i32 s0, ttmp9, s0
	s_mov_b32 s21, 0
	s_add_co_i32 s1, s1, s0
	s_cmp_eq_u32 s2, 0
	s_mov_b32 s27, s21
	s_cselect_b32 s20, ttmp9, s1
	s_lshr_b64 s[0:1], s[8:9], 9
	s_lshl_b32 s26, s20, 9
	s_delay_alu instid0(SALU_CYCLE_1)
	s_lshl_b64 s[2:3], s[26:27], 2
	s_cmp_lg_u64 s[0:1], s[20:21]
	s_add_nc_u64 s[24:25], s[22:23], s[2:3]
	s_cbranch_scc0 .LBB27_60
; %bb.14:
	global_load_b32 v18, v0, s[24:25] scale_offset
	s_wait_dscnt 0x4
	global_load_b32 v3, v0, s[24:25] offset:1024 scale_offset
	v_mov_b32_e32 v6, 2.0
	s_wait_dscnt 0x0
	v_dual_mov_b32 v2, 0x40400000 :: v_dual_mov_b32 v1, 0
	v_mov_b64_e32 v[10:11], 0x3e8000003f000000
	v_mov_b64_e32 v[12:13], 0x4000000040400000
	v_mov_b32_dpp v9, v6 quad_perm:[1,0,3,2] row_mask:0xf bank_mask:0xf
	v_mov_b64_e32 v[4:5], 0x40c0000040800000
	s_delay_alu instid0(VALU_DEP_2) | instskip(NEXT) | instid1(VALU_DEP_1)
	v_dual_mul_f32 v19, v9, v9 :: v_dual_mov_b32 v15, v6
	v_dual_fma_f32 v7, -2.0, v9, v19 :: v_dual_add_f32 v21, -2.0, v9
	s_delay_alu instid0(VALU_DEP_1) | instskip(SKIP_4) | instid1(VALU_DEP_2)
	v_add_f32_e32 v22, 4.0, v7
	s_wait_loadcnt 0x0
	v_cmp_lt_f32_e32 vcc_lo, v3, v18
	v_dual_sub_f32 v8, v3, v18 :: v_dual_cndmask_b32 v14, v18, v3, vcc_lo
	v_cmp_lt_f32_e32 vcc_lo, v18, v3
	v_mul_f32_e32 v23, 4.0, v8
	s_delay_alu instid0(VALU_DEP_3) | instskip(SKIP_2) | instid1(VALU_DEP_3)
	v_mov_b32_dpp v24, v14 quad_perm:[1,0,3,2] row_mask:0xf bank_mask:0xf
	v_dual_cndmask_b32 v20, v18, v3 :: v_dual_mul_f32 v3, v8, v8
	v_fmac_f32_e32 v18, 0.5, v8
	v_cmp_lt_f32_e32 vcc_lo, v14, v24
	s_delay_alu instid0(VALU_DEP_3) | instskip(NEXT) | instid1(VALU_DEP_4)
	v_mov_b32_dpp v25, v20 quad_perm:[1,0,3,2] row_mask:0xf bank_mask:0xf
	v_mul_f32_e32 v7, 0.5, v3
	v_pk_mul_f32 v[16:17], v[8:9], v[2:3] op_sel_hi:[0,1]
	v_dual_mul_f32 v26, 0, v23 :: v_dual_cndmask_b32 v23, v24, v14
	s_delay_alu instid0(VALU_DEP_4)
	v_cmp_gt_f32_e32 vcc_lo, v20, v25
	v_mul_f32_e32 v3, 0x40c00000, v3
	v_mov_b32_dpp v27, v18 quad_perm:[1,0,3,2] row_mask:0xf bank_mask:0xf
	v_mov_b32_e32 v14, v7
	v_mov_b32_dpp v28, v23 quad_perm:[2,3,0,1] row_mask:0xf bank_mask:0xf
	v_dual_cndmask_b32 v24, v25, v20 :: v_dual_mul_f32 v25, v8, v17
	v_pk_mul_f32 v[16:17], v[16:17], 0 op_sel_hi:[1,0]
	v_mul_f32_e32 v3, 0, v3
	s_delay_alu instid0(VALU_DEP_4) | instskip(NEXT) | instid1(VALU_DEP_4)
	v_cmp_lt_f32_e32 vcc_lo, v23, v28
	v_mov_b32_dpp v29, v24 quad_perm:[2,3,0,1] row_mask:0xf bank_mask:0xf
	v_mov_b32_dpp v8, v7 quad_perm:[1,0,3,2] row_mask:0xf bank_mask:0xf
	v_dual_sub_f32 v18, v18, v27 :: v_dual_mul_f32 v20, v7, v9
	v_dual_fmamk_f32 v25, v25, 0x3e000000, v1 :: v_dual_cndmask_b32 v28, v28, v23
	s_delay_alu instid0(VALU_DEP_4)
	v_cmp_gt_f32_e32 vcc_lo, v24, v29
	v_pk_mul_f32 v[10:11], v[16:17], v[10:11]
	v_pk_add_f32 v[14:15], v[14:15], v[8:9]
	v_mul_f32_e32 v23, v18, v18
	v_pk_fma_f32 v[16:17], v[6:7], v[8:9], v[20:21] op_sel_hi:[1,1,0] neg_lo:[1,0,0] neg_hi:[1,0,0]
	v_cndmask_b32_e32 v24, v29, v24, vcc_lo
	v_dual_mul_f32 v29, 4.0, v8 :: v_dual_add_f32 v30, v18, v18
	v_fmamk_f32 v8, v3, 0x3e800000, v25
	v_mov_b32_dpp v25, v28 row_ror:4 row_mask:0xf bank_mask:0xf
	v_add_f32_e32 v6, 0, v11
	v_mov_b32_dpp v32, v24 row_ror:4 row_mask:0xf bank_mask:0xf
	v_dual_mul_f32 v31, 4.0, v18 :: v_dual_mov_b32 v17, v21
	s_delay_alu instid0(VALU_DEP_4) | instskip(SKIP_3) | instid1(VALU_DEP_4)
	v_cmp_lt_f32_e64 s0, v28, v25
	v_fmac_f32_e32 v29, v7, v19
	v_pk_mul_f32 v[20:21], v[14:15], v[14:15]
	v_dual_mul_f32 v19, v23, v9 :: v_dual_add_f32 v10, v10, v6
	v_cndmask_b32_e64 v6, v25, v28, s0
	v_cmp_gt_f32_e64 s0, v24, v32
	v_dual_mul_f32 v7, v18, v23 :: v_dual_mul_f32 v20, 0x40c00000, v23
	v_dual_mov_b32 v3, v15 :: v_dual_mov_b32 v23, v15
	s_delay_alu instid0(VALU_DEP_3) | instskip(NEXT) | instid1(VALU_DEP_3)
	v_dual_fmac_f32 v8, 0.5, v26 :: v_dual_cndmask_b32 v24, v32, v24, s0
	v_dual_mul_f32 v28, v18, v7 :: v_dual_mul_f32 v26, v15, v21
	v_mov_b32_dpp v37, v6 row_ror:8 row_mask:0xf bank_mask:0xf
	v_div_scale_f32 v33, null, v15, v15, v30
	v_mov_b32_dpp v11, v15 quad_perm:[2,3,0,1] row_mask:0xf bank_mask:0xf
	v_dual_add_f32 v32, v19, v19 :: v_dual_mul_f32 v20, v20, v29
	v_mul_f32_e32 v19, v7, v9
	v_mov_b32_dpp v38, v24 row_ror:8 row_mask:0xf bank_mask:0xf
	v_cmp_lt_f32_e64 s2, v6, v37
	v_rcp_f32_e32 v29, v33
	v_dual_mul_f32 v35, v11, v11 :: v_dual_mov_b32 v25, v11
	v_mov_b32_dpp v7, v10 quad_perm:[1,0,3,2] row_mask:0xf bank_mask:0xf
	v_mov_b32_dpp v36, v8 quad_perm:[1,0,3,2] row_mask:0xf bank_mask:0xf
	v_pk_mul_f32 v[12:13], v[18:19], v[12:13]
	v_div_scale_f32 v19, null, v15, v15, v32
	v_cndmask_b32_e64 v37, v37, v6, s2
	v_cmp_gt_f32_e64 s2, v24, v38
	v_mul_f32_e32 v18, v28, v9
	v_div_scale_f32 v39, null, v21, v21, v20
	v_dual_fma_f32 v41, -v15, v11, v35 :: v_dual_add_f32 v36, v8, v36
	v_fma_f32 v42, -v33, v29, 1.0
	v_dual_add_f32 v43, v10, v7 :: v_dual_add_f32 v8, v7, v7
	v_pk_mul_f32 v[12:13], v[12:13], v[16:17]
	v_rcp_f32_e32 v17, v19
	v_cndmask_b32_e64 v6, v38, v24, s2
	ds_swizzle_b32 v24, v37 offset:swizzle(BROADCAST,32,15)
	v_dual_add_f32 v16, v18, v18 :: v_dual_add_f32 v38, v21, v41
	v_rcp_f32_e32 v18, v39
	v_div_scale_f32 v34, vcc_lo, v30, v15, v30
	v_fma_f32 v8, v10, v9, -v8
	v_fmac_f32_e32 v29, v42, v29
	v_div_scale_f32 v10, null, v15, v15, v12
	v_fma_f32 v44, -v19, v17, 1.0
	v_mul_f32_e32 v9, v22, v16
	v_div_scale_f32 v22, null, v21, v21, v13
	v_fma_f32 v45, -v39, v18, 1.0
	v_dual_mul_f32 v31, v31, v8 :: v_dual_mul_f32 v42, v34, v29
	v_rcp_f32_e32 v8, v10
	v_fmac_f32_e32 v17, v44, v17
	v_div_scale_f32 v47, null, v26, v26, v9
	v_div_scale_f32 v28, s0, v32, v15, v32
	v_div_scale_f32 v40, s1, v20, v21, v20
	v_rcp_f32_e32 v46, v22
	v_fmac_f32_e32 v18, v45, v18
	v_fma_f32 v49, -v33, v42, v34
	v_rcp_f32_e32 v44, v47
	v_div_scale_f32 v45, null, v15, v15, v31
	v_fma_f32 v51, -v10, v8, 1.0
	s_delay_alu instid0(VALU_DEP_3)
	v_dual_fmac_f32 v42, v49, v29 :: v_dual_mul_f32 v53, v40, v18
	v_mul_f32_e32 v49, v28, v17
	v_fma_f32 v52, -v22, v46, 1.0
	s_wait_dscnt 0x0
	v_cmp_lt_f32_e64 s6, v37, v24
	v_div_scale_f32 v16, s2, v12, v15, v12
	v_rcp_f32_e32 v54, v45
	v_dual_fma_f32 v33, -v33, v42, v34 :: v_dual_fma_f32 v34, -v19, v49, v28
	v_dual_fmac_f32 v46, v52, v46 :: v_dual_fmac_f32 v8, v51, v8
	v_cndmask_b32_e64 v55, v24, v37, s6
	v_fma_f32 v51, -v47, v44, 1.0
	v_fma_f32 v52, -v39, v53, v40
	v_div_scale_f32 v41, s3, v13, v21, v13
	v_div_scale_f32 v48, s4, v9, v26, v9
	v_div_fmas_f32 v24, v33, v29, v42
	s_delay_alu instid0(VALU_DEP_3) | instskip(SKIP_4) | instid1(VALU_DEP_3)
	v_dual_fmac_f32 v49, v34, v17 :: v_dual_mul_f32 v33, v41, v46
	v_mul_f32_e32 v29, v16, v8
	v_dual_fmac_f32 v44, v51, v44 :: v_dual_fmac_f32 v53, v52, v18
	v_fma_f32 v34, -v45, v54, 1.0
	v_div_fixup_f32 v24, v24, v15, v30
	v_dual_fma_f32 v19, -v19, v49, v28 :: v_dual_mul_f32 v37, v48, v44
	v_fma_f32 v28, -v10, v29, v16
	v_div_scale_f32 v50, s5, v31, v15, v31
	v_dual_fma_f32 v39, -v39, v53, v40 :: v_dual_fmac_f32 v54, v34, v54
	s_mov_b32 vcc_lo, s0
	v_dual_fma_f32 v30, -v22, v33, v41 :: v_dual_add_f32 v24, v24, v27
	v_div_fmas_f32 v17, v19, v17, v49
	v_dual_fmac_f32 v29, v28, v8 :: v_dual_fma_f32 v19, -v47, v37, v48
	v_mul_f32_e32 v27, v50, v54
	s_delay_alu instid0(VALU_DEP_4) | instskip(NEXT) | instid1(VALU_DEP_4)
	v_mov_b32_dpp v28, v24 quad_perm:[2,3,0,1] row_mask:0xf bank_mask:0xf
	v_div_fixup_f32 v17, v17, v15, v32
	s_mov_b32 vcc_lo, s2
	v_fmac_f32_e32 v37, v19, v44
	v_dual_fmac_f32 v33, v30, v46 :: v_dual_fma_f32 v19, -v45, v27, v50
	v_fma_f32 v10, -v10, v29, v16
	v_add_f32_e32 v14, v14, v17
	s_delay_alu instid0(VALU_DEP_4) | instskip(NEXT) | instid1(VALU_DEP_4)
	v_fma_f32 v17, -v47, v37, v48
	v_dual_fma_f32 v16, -v22, v33, v41 :: v_dual_fmac_f32 v27, v19, v54
	s_delay_alu instid0(VALU_DEP_4)
	v_div_fmas_f32 v10, v10, v8, v29
	v_sub_f32_e32 v8, v24, v28
	s_mov_b32 vcc_lo, s3
	v_mul_f32_e32 v24, v14, v11
	v_div_fmas_f32 v16, v16, v46, v33
	s_mov_b32 vcc_lo, s4
	v_div_fixup_f32 v29, v10, v15, v12
	v_div_fmas_f32 v12, v17, v44, v37
	v_dual_fma_f32 v17, -v45, v27, v50 :: v_dual_mul_f32 v19, v8, v8
	v_mov_b32_dpp v10, v14 quad_perm:[2,3,0,1] row_mask:0xf bank_mask:0xf
	s_mov_b32 vcc_lo, s1
	v_div_fixup_f32 v16, v16, v21, v13
	v_div_fmas_f32 v18, v39, v18, v53
	s_mov_b32 vcc_lo, s5
	v_div_fixup_f32 v9, v12, v26, v9
	v_div_fmas_f32 v17, v17, v54, v27
	v_pk_add_f32 v[12:13], v[14:15], v[10:11]
	v_dual_mul_f32 v22, v15, v10 :: v_dual_mul_f32 v26, v21, v10
	v_dual_mul_f32 v10, v8, v19 :: v_dual_mul_f32 v33, 0x40c00000, v19
	v_dual_mul_f32 v27, v19, v11 :: v_dual_add_f32 v36, v36, v9
	v_dual_mul_f32 v30, v15, v8 :: v_dual_mul_f32 v32, 4.0, v8
	v_add_f32_e32 v34, v43, v16
	v_div_fixup_f32 v31, v17, v15, v31
	v_pk_mul_f32 v[16:17], v[12:13], v[12:13]
	v_div_fixup_f32 v20, v18, v21, v20
	v_dual_fmac_f32 v26, v35, v14 :: v_dual_mul_f32 v9, v10, v11
	v_dual_mul_f32 v16, v8, v10 :: v_dual_mul_f32 v27, v15, v27
	v_mov_b32_e32 v10, v13
	v_pk_add_f32 v[18:19], v[24:25], v[22:23] neg_lo:[0,1] neg_hi:[0,1]
	v_div_scale_f32 v22, null, v13, v13, v30
	v_dual_add_f32 v29, v29, v34 :: v_dual_add_f32 v20, v20, v36
	v_mul_f32_e32 v34, v13, v17
	v_pk_mul_f32 v[8:9], v[2:3], v[8:9]
	v_dual_mul_f32 v3, v16, v11 :: v_dual_mul_f32 v16, v33, v26
	s_delay_alu instid0(VALU_DEP_4) | instskip(SKIP_4) | instid1(VALU_DEP_3)
	v_add_f32_e32 v20, v31, v20
	v_div_scale_f32 v35, null, v13, v13, v27
	v_rcp_f32_e32 v33, v22
	v_mov_b32_dpp v37, v29 quad_perm:[2,3,0,1] row_mask:0xf bank_mask:0xf
	v_pk_mul_f32 v[8:9], v[8:9], v[18:19]
	v_rcp_f32_e32 v18, v35
	v_div_scale_f32 v19, null, v17, v17, v16
	s_delay_alu instid0(VALU_DEP_3) | instskip(SKIP_2) | instid1(VALU_DEP_4)
	v_dual_mul_f32 v3, v15, v3 :: v_dual_add_f32 v39, v29, v37
	v_mul_f32_e32 v15, v15, v37
	v_fma_f32 v37, -v22, v33, 1.0
	v_rcp_f32_e32 v44, v19
	v_mov_b32_dpp v40, v20 quad_perm:[2,3,0,1] row_mask:0xf bank_mask:0xf
	v_mul_f32_e32 v3, v38, v3
	v_fma_f32 v11, v29, v11, -v15
	v_fma_f32 v15, -v35, v18, 1.0
	v_div_scale_f32 v24, vcc_lo, v30, v13, v30
	v_fmac_f32_e32 v33, v37, v33
	v_div_scale_f32 v42, null, v17, v17, v9
	v_div_scale_f32 v38, null, v13, v13, v8
	v_fmac_f32_e32 v18, v15, v18
	v_fma_f32 v15, -v19, v44, 1.0
	v_mul_f32_e32 v46, v24, v33
	v_rcp_f32_e32 v37, v42
	v_div_scale_f32 v36, s0, v27, v13, v27
	v_add_f32_e32 v29, v20, v40
	v_rcp_f32_e32 v20, v38
	v_div_scale_f32 v40, null, v34, v34, v3
	v_dual_fmac_f32 v44, v15, v44 :: v_dual_mul_f32 v11, v32, v11
	v_fma_f32 v47, -v22, v46, v24
	s_delay_alu instid0(VALU_DEP_3)
	v_rcp_f32_e32 v32, v40
	v_mul_f32_e32 v48, v36, v18
	v_fma_f32 v50, -v42, v37, 1.0
	v_div_scale_f32 v51, null, v13, v13, v11
	v_div_scale_f32 v31, s1, v16, v17, v16
	v_fma_f32 v49, -v38, v20, 1.0
	v_fmac_f32_e32 v46, v47, v33
	v_dual_fma_f32 v15, -v35, v48, v36 :: v_dual_fmac_f32 v37, v50, v37
	v_rcp_f32_e32 v50, v51
	v_div_scale_f32 v43, s3, v9, v17, v9
	v_fmac_f32_e32 v20, v49, v20
	v_fma_f32 v47, -v40, v32, 1.0
	v_dual_mul_f32 v49, v31, v44 :: v_dual_fma_f32 v22, -v22, v46, v24
	v_div_scale_f32 v41, s2, v8, v13, v8
	s_delay_alu instid0(VALU_DEP_3) | instskip(SKIP_1) | instid1(VALU_DEP_3)
	v_fmac_f32_e32 v32, v47, v32
	v_mul_f32_e32 v47, v43, v37
	v_dual_fmac_f32 v48, v15, v18 :: v_dual_mul_f32 v24, v41, v20
	v_div_fmas_f32 v15, v22, v33, v46
	v_fma_f32 v33, -v51, v50, 1.0
	v_div_scale_f32 v45, s4, v3, v34, v3
	s_delay_alu instid0(VALU_DEP_4) | instskip(NEXT) | instid1(VALU_DEP_4)
	v_fma_f32 v35, -v35, v48, v36
	v_div_fixup_f32 v15, v15, v13, v30
	s_delay_alu instid0(VALU_DEP_4) | instskip(NEXT) | instid1(VALU_DEP_4)
	v_dual_fmac_f32 v50, v33, v50 :: v_dual_fma_f32 v22, -v19, v49, v31
	v_dual_mul_f32 v30, v45, v32 :: v_dual_fma_f32 v33, -v42, v47, v43
	s_mov_b32 vcc_lo, s0
	v_div_scale_f32 v36, s5, v11, v13, v11
	s_delay_alu instid0(VALU_DEP_2) | instskip(SKIP_3) | instid1(VALU_DEP_4)
	v_dual_fmac_f32 v49, v22, v44 :: v_dual_fmac_f32 v47, v33, v37
	v_fma_f32 v22, -v38, v24, v41
	v_div_fmas_f32 v18, v35, v18, v48
	v_add_f32_e32 v28, v15, v28
	v_dual_fma_f32 v19, -v19, v49, v31 :: v_dual_mul_f32 v31, v36, v50
	s_delay_alu instid0(VALU_DEP_4) | instskip(NEXT) | instid1(VALU_DEP_4)
	v_dual_fmac_f32 v24, v22, v20 :: v_dual_fma_f32 v22, -v40, v30, v45
	v_div_fixup_f32 v15, v18, v13, v27
	s_mov_b32 vcc_lo, s2
	v_mov_b32_dpp v33, v28 row_ror:4 row_mask:0xf bank_mask:0xf
	s_delay_alu instid0(VALU_DEP_3) | instskip(NEXT) | instid1(VALU_DEP_3)
	v_fma_f32 v18, -v38, v24, v41
	v_dual_fmac_f32 v30, v22, v32 :: v_dual_add_f32 v15, v12, v15
	v_fma_f32 v27, -v42, v47, v43
	v_fma_f32 v22, -v51, v31, v36
	s_delay_alu instid0(VALU_DEP_4)
	v_div_fmas_f32 v12, v18, v20, v24
	s_mov_b32 vcc_lo, s3
	v_fma_f32 v18, -v40, v30, v45
	v_div_fmas_f32 v27, v27, v37, v47
	s_mov_b32 vcc_lo, s4
	v_mov_b32_dpp v21, v13 row_ror:4 row_mask:0xf bank_mask:0xf
	v_mov_b32_dpp v20, v15 row_ror:4 row_mask:0xf bank_mask:0xf
	v_fmac_f32_e32 v31, v22, v50
	v_div_fixup_f32 v35, v12, v13, v8
	v_div_fmas_f32 v8, v18, v32, v30
	v_sub_f32_e32 v12, v28, v33
	v_div_fixup_f32 v27, v27, v17, v9
	s_mov_b32 vcc_lo, s1
	v_mul_f32_e32 v24, v15, v21
	v_div_fmas_f32 v28, v19, v44, v49
	v_pk_mul_f32 v[18:19], v[20:21], v[20:21]
	v_dual_fma_f32 v30, -v51, v31, v36 :: v_dual_mul_f32 v32, v13, v12
	v_div_fixup_f32 v3, v8, v34, v3
	v_dual_mul_f32 v9, v12, v12 :: v_dual_add_f32 v18, v39, v27
	s_mov_b32 vcc_lo, s5
	v_dual_mov_b32 v23, v13 :: v_dual_mov_b32 v14, v13
	v_dual_mov_b32 v25, v21 :: v_dual_mov_b32 v26, v17
	v_dual_mul_f32 v22, v13, v20 :: v_dual_mov_b32 v8, v12
	v_div_fixup_f32 v16, v28, v17, v16
	v_div_fmas_f32 v28, v30, v50, v31
	v_dual_add_f32 v3, v29, v3 :: v_dual_mul_f32 v29, v12, v9
	v_dual_add_f32 v27, v35, v18 :: v_dual_mul_f32 v30, v9, v21
	v_pk_add_f32 v[22:23], v[24:25], v[22:23] neg_lo:[0,1] neg_hi:[0,1]
	s_delay_alu instid0(VALU_DEP_4) | instskip(NEXT) | instid1(VALU_DEP_4)
	v_div_fixup_f32 v11, v28, v13, v11
	v_dual_add_f32 v25, v16, v3 :: v_dual_fma_f32 v24, -v13, v21, v19
	s_delay_alu instid0(VALU_DEP_4) | instskip(SKIP_2) | instid1(VALU_DEP_4)
	v_dual_mul_f32 v31, v13, v30 :: v_dual_mul_f32 v28, v12, v29
	v_mul_f32_e32 v3, v29, v21
	v_mov_b32_dpp v18, v27 row_ror:4 row_mask:0xf bank_mask:0xf
	v_add_f32_e32 v29, v17, v24
	v_pk_mul_f32 v[16:17], v[26:27], v[20:21]
	v_add_f32_e32 v26, v11, v25
	v_pk_mul_f32 v[24:25], v[12:13], v[2:3]
	v_dual_mul_f32 v3, v28, v21 :: v_dual_add_f32 v27, v27, v18
	v_mov_b32_e32 v12, v15
	v_pk_fma_f32 v[14:15], v[14:15], v[18:19], v[16:17] op_sel:[0,0,1] op_sel_hi:[1,1,0]
	v_pk_fma_f32 v[10:11], v[10:11], v[18:19], v[16:17] op_sel:[0,0,1] op_sel_hi:[1,1,0] neg_lo:[1,0,0] neg_hi:[1,0,0]
	s_delay_alu instid0(VALU_DEP_4)
	v_mul_f32_e32 v3, v13, v3
	v_pk_mul_f32 v[8:9], v[8:9], v[4:5]
	v_pk_add_f32 v[12:13], v[12:13], v[20:21]
	v_mov_b32_dpp v14, v26 row_ror:4 row_mask:0xf bank_mask:0xf
	v_mov_b32_e32 v11, v15
	v_pk_mul_f32 v[16:17], v[24:25], v[22:23]
	ds_swizzle_b32 v7, v6 offset:swizzle(BROADCAST,32,15)
	v_div_scale_f32 v15, null, v13, v13, v32
	v_mov_b32_dpp v18, v13 row_ror:8 row_mask:0xf bank_mask:0xf
	v_add_f32_e32 v34, v26, v14
	v_pk_mul_f32 v[8:9], v[8:9], v[10:11]
	s_delay_alu instid0(VALU_DEP_4)
	v_rcp_f32_e32 v10, v15
	v_dual_mov_b32 v22, v13 :: v_dual_mov_b32 v24, v13
	v_dual_mov_b32 v26, v13 :: v_dual_mov_b32 v23, v18
	v_div_scale_f32 v20, null, v13, v13, v31
	v_div_scale_f32 v30, null, v13, v13, v16
	v_dual_mul_f32 v3, v29, v3 :: v_dual_mov_b32 v11, v18
	s_delay_alu instid0(VALU_DEP_4) | instskip(SKIP_4) | instid1(VALU_DEP_2)
	v_pk_mul_f32 v[28:29], v[22:23], v[22:23]
	v_fma_f32 v40, -v15, v10, 1.0
	v_rcp_f32_e32 v36, v20
	v_rcp_f32_e32 v37, v30
	v_div_scale_f32 v19, vcc_lo, v32, v13, v32
	v_dual_mul_f32 v44, v13, v28 :: v_dual_fmac_f32 v10, v40, v10
	v_div_scale_f32 v38, null, v13, v13, v8
	s_delay_alu instid0(TRANS32_DEP_2) | instskip(NEXT) | instid1(TRANS32_DEP_1)
	v_fma_f32 v41, -v20, v36, 1.0
	v_fma_f32 v42, -v30, v37, 1.0
	s_delay_alu instid0(VALU_DEP_4) | instskip(NEXT) | instid1(VALU_DEP_4)
	v_mul_f32_e32 v46, v19, v10
	v_rcp_f32_e32 v43, v38
	v_div_scale_f32 v40, null, v28, v28, v17
	s_delay_alu instid0(VALU_DEP_3) | instskip(NEXT) | instid1(VALU_DEP_3)
	v_dual_fmac_f32 v36, v41, v36 :: v_dual_fmac_f32 v37, v42, v37
	v_fma_f32 v41, -v15, v46, v19
	v_div_scale_f32 v25, s0, v31, v13, v31
	v_div_scale_f32 v35, s1, v16, v13, v16
	v_div_scale_f32 v47, null, v28, v28, v9
	v_fma_f32 v42, -v38, v43, 1.0
	s_delay_alu instid0(VALU_DEP_3) | instskip(SKIP_1) | instid1(VALU_DEP_2)
	v_dual_fmac_f32 v46, v41, v10 :: v_dual_mul_f32 v51, v35, v37
	v_rcp_f32_e32 v48, v40
	v_dual_mul_f32 v41, v25, v36 :: v_dual_fmac_f32 v43, v42, v43
	v_div_scale_f32 v49, null, v44, v44, v3
	v_rcp_f32_e32 v50, v47
	s_delay_alu instid0(VALU_DEP_2) | instskip(SKIP_1) | instid1(TRANS32_DEP_2)
	v_dual_fma_f32 v15, -v15, v46, v19 :: v_dual_fma_f32 v19, -v20, v41, v25
	v_div_scale_f32 v39, s2, v8, v13, v8
	v_fma_f32 v42, -v40, v48, 1.0
	s_delay_alu instid0(VALU_DEP_3)
	v_div_fmas_f32 v10, v15, v10, v46
	v_rcp_f32_e32 v46, v49
	v_dual_fma_f32 v15, -v30, v51, v35 :: v_dual_fmac_f32 v41, v19, v36
	v_fma_f32 v19, -v47, v50, 1.0
	v_dual_fmac_f32 v48, v42, v48 :: v_dual_mul_f32 v42, v39, v43
	v_div_scale_f32 v45, s3, v17, v28, v17
	s_delay_alu instid0(VALU_DEP_4) | instskip(SKIP_4) | instid1(VALU_DEP_3)
	v_fmac_f32_e32 v51, v15, v37
	v_div_scale_f32 v52, s4, v9, v28, v9
	v_dual_fmac_f32 v50, v19, v50 :: v_dual_fma_f32 v19, -v20, v41, v25
	v_fma_f32 v15, -v49, v46, 1.0
	v_dual_fma_f32 v20, -v38, v42, v39 :: v_dual_mul_f32 v54, v45, v48
	v_mul_f32_e32 v56, v52, v50
	v_div_scale_f32 v53, s5, v3, v44, v3
	s_delay_alu instid0(VALU_DEP_4) | instskip(NEXT) | instid1(VALU_DEP_3)
	v_dual_fmac_f32 v46, v15, v46 :: v_dual_fma_f32 v35, -v30, v51, v35
	v_dual_fmac_f32 v42, v20, v43 :: v_dual_fma_f32 v20, -v47, v56, v52
	s_mov_b32 vcc_lo, s0
	v_div_fixup_f32 v10, v10, v13, v32
	v_div_fmas_f32 v15, v19, v36, v41
	v_dual_fma_f32 v19, -v40, v54, v45 :: v_dual_mov_b32 v30, v29
	v_fma_f32 v36, -v38, v42, v39
	v_mul_f32_e32 v38, v53, v46
	s_delay_alu instid0(VALU_DEP_3) | instskip(SKIP_1) | instid1(VALU_DEP_3)
	v_dual_fmac_f32 v56, v20, v50 :: v_dual_fmac_f32 v54, v19, v48
	v_div_fixup_f32 v20, v15, v13, v31
	v_dual_add_f32 v31, v10, v33 :: v_dual_fma_f32 v19, -v49, v38, v53
	v_mov_b32_e32 v15, v28
	s_delay_alu instid0(VALU_DEP_4) | instskip(NEXT) | instid1(VALU_DEP_4)
	v_fma_f32 v10, -v40, v54, v45
	v_add_f32_e32 v25, v12, v20
	s_delay_alu instid0(VALU_DEP_4) | instskip(SKIP_3) | instid1(VALU_DEP_3)
	v_mov_b32_dpp v40, v31 row_ror:8 row_mask:0xf bank_mask:0xf
	v_fmac_f32_e32 v38, v19, v46
	s_mov_b32 vcc_lo, s3
	v_dual_mov_b32 v14, v13 :: v_dual_mov_b32 v21, v13
	v_sub_f32_e32 v20, v31, v40
	v_fma_f32 v39, -v47, v56, v52
	v_div_fmas_f32 v32, v10, v48, v54
	v_fma_f32 v33, -v49, v38, v53
	s_mov_b32 vcc_lo, s1
	v_mov_b32_dpp v19, v25 row_ror:8 row_mask:0xf bank_mask:0xf
	v_div_fmas_f32 v35, v35, v37, v51
	s_mov_b32 vcc_lo, s5
	v_div_fixup_f32 v37, v32, v28, v17
	v_div_fmas_f32 v38, v33, v46, v38
	s_mov_b32 vcc_lo, s2
	v_pk_mul_f32 v[32:33], v[12:13], v[18:19]
	v_div_fixup_f32 v32, v35, v13, v16
	v_div_fmas_f32 v35, v36, v43, v42
	s_mov_b32 vcc_lo, s4
	v_dual_mul_f32 v10, v25, v18 :: v_dual_add_f32 v37, v27, v37
	v_pk_fma_f32 v[16:17], v[14:15], v[18:19], v[30:31] neg_lo:[1,0,0] neg_hi:[1,0,0]
	v_pk_add_f32 v[30:31], v[24:25], v[18:19]
	v_div_fmas_f32 v14, v39, v50, v56
	v_dual_mul_f32 v41, v13, v20 :: v_dual_mul_f32 v39, v20, v20
	v_div_fixup_f32 v3, v38, v44, v3
	s_delay_alu instid0(VALU_DEP_4) | instskip(NEXT) | instid1(VALU_DEP_4)
	v_mov_b32_e32 v27, v30
	v_div_fixup_f32 v9, v14, v28, v9
	v_add_f32_e32 v14, v32, v37
	v_div_scale_f32 v37, null, v30, v30, v41
	v_pk_fma_f32 v[16:17], v[22:23], v[22:23], v[16:17]
	v_dual_mul_f32 v22, v20, v39 :: v_dual_mul_f32 v28, v39, v18
	v_add_f32_e32 v32, v34, v3
	s_delay_alu instid0(VALU_DEP_4)
	v_rcp_f32_e32 v44, v37
	v_dual_mov_b32 v12, v33 :: v_dual_mov_b32 v23, v30
	v_div_fixup_f32 v38, v35, v13, v8
	v_dual_mul_f32 v34, v20, v22 :: v_dual_mul_f32 v43, v13, v28
	v_dual_mul_f32 v3, v22, v18 :: v_dual_add_f32 v9, v9, v32
	v_mov_b32_dpp v28, v14 row_ror:8 row_mask:0xf bank_mask:0xf
	ds_swizzle_b32 v8, v30 offset:swizzle(BROADCAST,32,15)
	v_pk_add_f32 v[10:11], v[10:11], v[12:13] neg_lo:[0,1] neg_hi:[0,1]
	v_pk_mul_f32 v[12:13], v[20:21], v[2:3]
	v_dual_mul_f32 v22, v34, v18 :: v_dual_mov_b32 v21, v39
	v_pk_mul_f32 v[24:25], v[24:25], v[28:29]
	v_fma_f32 v32, -v37, v44, 1.0
	v_add_f32_e32 v9, v38, v9
	v_add_f32_e32 v38, v14, v28
	v_div_scale_f32 v28, null, v30, v30, v43
	v_dual_mov_b32 v36, v30 :: v_dual_mov_b32 v17, v30
	v_pk_mul_f32 v[10:11], v[12:13], v[10:11]
	v_pk_mul_f32 v[12:13], v[20:21], v[4:5]
	v_pk_fma_f32 v[20:21], v[14:15], v[18:19], v[24:25] neg_lo:[0,0,1] neg_hi:[0,0,1]
	v_pk_fma_f32 v[14:15], v[14:15], v[18:19], v[24:25]
	v_pk_mul_f32 v[18:19], v[26:27], v[22:23]
	v_rcp_f32_e32 v22, v28
	v_fmac_f32_e32 v44, v32, v44
	v_mov_b32_dpp v34, v9 row_ror:8 row_mask:0xf bank_mask:0xf
	v_div_scale_f32 v42, vcc_lo, v41, v30, v41
	v_mov_b32_e32 v21, v15
	v_pk_mul_f32 v[14:15], v[16:17], v[18:19]
	s_delay_alu instid0(VALU_DEP_4)
	v_add_f32_e32 v24, v9, v34
	v_div_scale_f32 v9, null, v19, v19, v11
	v_dual_mov_b32 v34, v19 :: v_dual_mul_f32 v25, v42, v44
	v_fma_f32 v26, -v28, v22, 1.0
	v_div_scale_f32 v17, null, v30, v30, v10
	v_pk_mul_f32 v[12:13], v[12:13], v[20:21]
	v_rcp_f32_e32 v20, v9
	v_div_scale_f32 v27, null, v15, v15, v14
	v_div_scale_f32 v29, s0, v43, v30, v43
	v_fma_f32 v45, -v37, v25, v42
	v_fmac_f32_e32 v22, v26, v22
	v_rcp_f32_e32 v21, v17
	v_rcp_f32_e32 v26, v27
	v_fma_f32 v50, -v9, v20, 1.0
	v_fmac_f32_e32 v25, v45, v44
	v_mul_f32_e32 v45, v29, v22
	v_div_scale_f32 v16, s1, v11, v19, v11
	s_delay_alu instid0(TRANS32_DEP_2) | instskip(NEXT) | instid1(VALU_DEP_4)
	v_fma_f32 v51, -v17, v21, 1.0
	v_dual_fma_f32 v37, -v37, v25, v42 :: v_dual_fmac_f32 v20, v50, v20
	v_fma_f32 v50, -v27, v26, 1.0
	v_fma_f32 v42, -v28, v45, v29
	v_div_scale_f32 v46, null, v30, v30, v12
	v_div_scale_f32 v48, null, v19, v19, v13
	v_div_scale_f32 v18, s2, v10, v30, v10
	v_div_scale_f32 v39, s3, v14, v15, v14
	v_fmac_f32_e32 v21, v51, v21
	v_div_fmas_f32 v25, v37, v44, v25
	v_dual_mul_f32 v37, v16, v20 :: v_dual_fmac_f32 v26, v50, v26
	v_fmac_f32_e32 v45, v42, v22
	v_rcp_f32_e32 v52, v46
	v_rcp_f32_e32 v53, v48
	s_delay_alu instid0(VALU_DEP_2) | instskip(NEXT) | instid1(VALU_DEP_2)
	v_dual_mul_f32 v42, v18, v21 :: v_dual_mul_f32 v51, v39, v26
	v_fma_f32 v28, -v28, v45, v29
	s_mov_b32 vcc_lo, s0
	v_div_fixup_f32 v25, v25, v30, v41
	s_delay_alu instid0(TRANS32_DEP_2) | instskip(NEXT) | instid1(TRANS32_DEP_1)
	v_fma_f32 v44, -v46, v52, 1.0
	v_fma_f32 v50, -v48, v53, 1.0
	v_fma_f32 v29, -v9, v37, v16
	v_fma_f32 v41, -v17, v42, v18
	v_div_fmas_f32 v22, v28, v22, v45
	v_div_scale_f32 v47, s4, v12, v30, v12
	v_dual_fmac_f32 v52, v44, v52 :: v_dual_fmac_f32 v53, v50, v53
	v_div_scale_f32 v49, s5, v13, v19, v13
	v_dual_add_f32 v25, v25, v40 :: v_dual_fma_f32 v28, -v27, v51, v39
	v_fmac_f32_e32 v37, v29, v20
	v_div_fixup_f32 v22, v22, v30, v43
	v_dual_fmac_f32 v42, v41, v21 :: v_dual_mul_f32 v29, v47, v52
	s_delay_alu instid0(VALU_DEP_4) | instskip(NEXT) | instid1(VALU_DEP_3)
	v_dual_mul_f32 v40, v49, v53 :: v_dual_fmac_f32 v51, v28, v26
	v_dual_add_f32 v41, v31, v22 :: v_dual_fma_f32 v9, -v9, v37, v16
	s_delay_alu instid0(VALU_DEP_3) | instskip(SKIP_1) | instid1(VALU_DEP_3)
	v_dual_fma_f32 v16, -v17, v42, v18 :: v_dual_fma_f32 v17, -v46, v29, v47
	s_mov_b32 vcc_lo, s1
	v_fma_f32 v18, -v48, v40, v49
	ds_swizzle_b32 v28, v25 offset:swizzle(BROADCAST,32,15)
	v_div_fmas_f32 v9, v9, v20, v37
	v_dual_fma_f32 v20, -v27, v51, v39 :: v_dual_fmac_f32 v29, v17, v52
	s_mov_b32 vcc_lo, s2
	s_wait_dscnt 0x1
	v_dual_fmac_f32 v40, v18, v53 :: v_dual_mul_f32 v22, v41, v8
	v_div_fixup_f32 v11, v9, v19, v11
	ds_swizzle_b32 v9, v41 offset:swizzle(BROADCAST,32,15)
	v_div_fmas_f32 v16, v16, v21, v42
	s_mov_b32 vcc_lo, s3
	v_fma_f32 v18, -v46, v29, v47
	v_div_fmas_f32 v17, v20, v26, v51
	v_fma_f32 v20, -v48, v40, v49
	v_mov_b32_e32 v32, v8
	v_div_fixup_f32 v10, v16, v30, v10
	v_add_f32_e32 v11, v38, v11
	s_mov_b32 vcc_lo, s4
	v_div_fixup_f32 v14, v17, v15, v14
	v_div_fmas_f32 v15, v18, v52, v29
	s_mov_b32 vcc_lo, s5
	v_add_f32_e32 v18, v10, v11
	v_div_fmas_f32 v16, v20, v53, v40
	v_dual_mov_b32 v33, v30 :: v_dual_mov_b32 v35, v30
	s_wait_dscnt 0x1
	v_dual_sub_f32 v10, v25, v28 :: v_dual_add_f32 v11, v24, v14
	s_delay_alu instid0(VALU_DEP_3)
	v_div_fixup_f32 v13, v16, v19, v13
	v_div_fixup_f32 v17, v15, v30, v12
	ds_swizzle_b32 v12, v18 offset:swizzle(BROADCAST,32,15)
	v_mul_f32_e32 v21, v10, v10
	s_wait_dscnt 0x1
	v_pk_mul_f32 v[14:15], v[32:33], v[8:9] op_sel_hi:[1,0]
	v_dual_add_f32 v11, v13, v11 :: v_dual_mul_f32 v24, v30, v10
	s_delay_alu instid0(VALU_DEP_3) | instskip(SKIP_1) | instid1(VALU_DEP_3)
	v_dual_mov_b32 v16, v9 :: v_dual_mul_f32 v13, v10, v21
	v_mul_f32_e32 v25, v21, v8
	v_dual_add_f32 v26, v17, v11 :: v_dual_mov_b32 v20, v15
	s_delay_alu instid0(VALU_DEP_3) | instskip(NEXT) | instid1(VALU_DEP_4)
	v_pk_mul_f32 v[16:17], v[30:31], v[16:17]
	v_dual_mul_f32 v27, v10, v13 :: v_dual_mul_f32 v11, v13, v8
	v_dual_mov_b32 v13, v14 :: v_dual_mov_b32 v17, v30
	s_delay_alu instid0(VALU_DEP_4) | instskip(SKIP_3) | instid1(VALU_DEP_3)
	v_pk_fma_f32 v[14:15], v[32:33], v[8:9], v[20:21] op_sel_hi:[1,0,1] neg_lo:[0,0,1] neg_hi:[0,0,1]
	v_dual_mov_b32 v3, v30 :: v_dual_mov_b32 v23, v8
	v_dual_mul_f32 v25, v30, v25 :: v_dual_mov_b32 v31, v41
	v_mov_b32_e32 v15, v8
	v_pk_mul_f32 v[2:3], v[2:3], v[10:11]
	v_mov_b32_e32 v11, v21
	v_pk_add_f32 v[16:17], v[22:23], v[16:17] neg_lo:[0,1] neg_hi:[0,1]
	s_wait_dscnt 0x0
	v_pk_mul_f32 v[20:21], v[30:31], v[12:13]
	v_pk_add_f32 v[14:15], v[34:35], v[14:15]
	ds_swizzle_b32 v29, v26 offset:swizzle(BROADCAST,32,15)
	v_pk_mul_f32 v[4:5], v[10:11], v[4:5]
	v_pk_mul_f32 v[2:3], v[2:3], v[16:17]
	v_pk_fma_f32 v[16:17], v[18:19], v[8:9], v[20:21]
	v_mul_f32_e32 v22, v27, v8
	v_dual_mov_b32 v37, v15 :: v_dual_mov_b32 v23, v15
	v_pk_fma_f32 v[10:11], v[18:19], v[8:9], v[20:21] neg_lo:[0,0,1] neg_hi:[0,0,1]
	v_div_scale_f32 v8, null, v15, v15, v24
	v_div_scale_f32 v13, null, v15, v15, v25
	v_mov_b32_e32 v11, v17
	v_pk_mul_f32 v[20:21], v[36:37], v[22:23]
	s_delay_alu instid0(VALU_DEP_4) | instskip(NEXT) | instid1(VALU_DEP_3)
	v_rcp_f32_e32 v19, v8
	v_rcp_f32_e32 v27, v13
	v_div_scale_f32 v23, null, v15, v15, v2
	s_delay_alu instid0(VALU_DEP_2) | instskip(SKIP_1) | instid1(TRANS32_DEP_2)
	v_div_scale_f32 v30, null, v21, v21, v3
	v_div_scale_f32 v16, vcc_lo, v24, v15, v24
	v_fma_f32 v31, -v8, v19, 1.0
	s_delay_alu instid0(VALU_DEP_3) | instskip(NEXT) | instid1(TRANS32_DEP_2)
	v_rcp_f32_e32 v17, v30
	v_fma_f32 v32, -v13, v27, 1.0
	v_div_scale_f32 v22, s0, v25, v15, v25
	s_delay_alu instid0(VALU_DEP_3) | instskip(SKIP_1) | instid1(VALU_DEP_3)
	v_fmac_f32_e32 v19, v31, v19
	v_rcp_f32_e32 v31, v23
	v_fmac_f32_e32 v27, v32, v27
	s_delay_alu instid0(TRANS32_DEP_2) | instskip(SKIP_2) | instid1(VALU_DEP_3)
	v_fma_f32 v36, -v30, v17, 1.0
	v_pk_mul_f32 v[4:5], v[4:5], v[10:11]
	v_div_scale_f32 v35, s2, v3, v21, v3
	v_dual_mul_f32 v34, v22, v27 :: v_dual_fmac_f32 v17, v36, v17
	v_mul_f32_e32 v32, v16, v19
	v_pk_mul_f32 v[10:11], v[14:15], v[20:21]
	v_fma_f32 v14, -v23, v31, 1.0
	s_delay_alu instid0(VALU_DEP_4) | instskip(SKIP_1) | instid1(VALU_DEP_4)
	v_fma_f32 v38, -v13, v34, v22
	v_div_scale_f32 v36, null, v21, v21, v5
	v_div_scale_f32 v20, null, v11, v11, v10
	s_delay_alu instid0(VALU_DEP_4) | instskip(SKIP_3) | instid1(VALU_DEP_3)
	v_dual_fmac_f32 v31, v14, v31 :: v_dual_mul_f32 v14, v35, v17
	v_fma_f32 v37, -v8, v32, v16
	v_div_scale_f32 v33, s1, v2, v15, v2
	v_dual_add_f32 v9, v41, v9 :: v_dual_add_f32 v12, v18, v12
	v_fmac_f32_e32 v32, v37, v19
	v_fmac_f32_e32 v34, v38, v27
	v_rcp_f32_e32 v38, v36
	s_delay_alu instid0(VALU_DEP_1) | instskip(SKIP_2) | instid1(VALU_DEP_2)
	v_dual_fma_f32 v8, -v8, v32, v16 :: v_dual_fma_f32 v13, -v13, v34, v22
	v_rcp_f32_e32 v16, v20
	v_div_scale_f32 v22, null, v15, v15, v4
	v_div_fmas_f32 v8, v8, v19, v32
	s_mov_b32 vcc_lo, s0
	v_fma_f32 v19, -v30, v14, v35
	s_delay_alu instid0(VALU_DEP_3)
	v_rcp_f32_e32 v32, v22
	v_div_fmas_f32 v13, v13, v27, v34
	v_fma_f32 v27, -v20, v16, 1.0
	v_mul_f32_e32 v34, v33, v31
	v_fma_f32 v40, -v36, v38, 1.0
	s_mov_b32 vcc_lo, s2
	v_div_fixup_f32 v8, v8, v15, v24
	v_fmac_f32_e32 v16, v27, v16
	v_div_scale_f32 v27, s0, v10, v11, v10
	v_fma_f32 v37, -v22, v32, 1.0
	s_delay_alu instid0(VALU_DEP_1) | instskip(NEXT) | instid1(VALU_DEP_1)
	v_dual_fmac_f32 v14, v19, v17 :: v_dual_fmac_f32 v32, v37, v32
	v_dual_mul_f32 v39, v27, v16 :: v_dual_fma_f32 v30, -v30, v14, v35
	v_div_scale_f32 v37, s3, v4, v15, v4
	v_fma_f32 v19, -v23, v34, v33
	s_delay_alu instid0(VALU_DEP_3) | instskip(NEXT) | instid1(VALU_DEP_3)
	v_div_fmas_f32 v14, v30, v17, v14
	v_dual_mul_f32 v35, v37, v32 :: v_dual_fmac_f32 v38, v40, v38
	s_delay_alu instid0(VALU_DEP_3)
	v_fmac_f32_e32 v34, v19, v31
	v_fma_f32 v19, -v20, v39, v27
	v_div_scale_f32 v40, s4, v5, v21, v5
	s_mov_b32 vcc_lo, s1
	v_div_fixup_f32 v3, v14, v21, v3
	v_fmac_f32_e32 v39, v19, v16
	v_fma_f32 v17, -v23, v34, v33
	v_dual_fma_f32 v19, -v22, v35, v37 :: v_dual_mul_f32 v23, v40, v38
	s_delay_alu instid0(VALU_DEP_4) | instskip(NEXT) | instid1(VALU_DEP_4)
	v_add_f32_e32 v3, v12, v3
	v_fma_f32 v20, -v20, v39, v27
	s_delay_alu instid0(VALU_DEP_4) | instskip(NEXT) | instid1(VALU_DEP_4)
	v_div_fmas_f32 v17, v17, v31, v34
	v_dual_fmac_f32 v35, v19, v32 :: v_dual_fma_f32 v27, -v36, v23, v40
	s_wait_dscnt 0x0
	v_add_f32_e32 v19, v26, v29
	s_mov_b32 vcc_lo, s0
	v_div_fixup_f32 v2, v17, v15, v2
	v_div_fmas_f32 v16, v20, v16, v39
	v_dual_fmac_f32 v23, v27, v38 :: v_dual_fma_f32 v20, -v22, v35, v37
	s_mov_b32 vcc_lo, s3
	s_mov_b32 s0, exec_lo
	s_delay_alu instid0(VALU_DEP_2) | instskip(NEXT) | instid1(VALU_DEP_2)
	v_div_fixup_f32 v10, v16, v11, v10
	v_fma_f32 v11, -v36, v23, v40
	v_div_fmas_f32 v16, v20, v32, v35
	s_mov_b32 vcc_lo, s4
	s_delay_alu instid0(VALU_DEP_3) | instskip(NEXT) | instid1(VALU_DEP_3)
	v_add_f32_e32 v10, v19, v10
	v_div_fmas_f32 v11, v11, v38, v23
	s_delay_alu instid0(VALU_DEP_3) | instskip(SKIP_1) | instid1(VALU_DEP_3)
	v_div_fixup_f32 v4, v16, v15, v4
	v_cmp_gt_f32_e32 vcc_lo, v6, v7
	v_div_fixup_f32 v5, v11, v21, v5
	v_div_fixup_f32 v11, v13, v15, v25
	v_dual_cndmask_b32 v6, v7, v6 :: v_dual_add_f32 v7, v8, v28
	ds_bpermute_b32 v8, v1, v55 offset:124
	v_add_f32_e32 v5, v5, v10
	v_add_f32_e32 v10, v9, v11
	;; [unrolled: 1-line block ×3, first 2 shown]
	ds_bpermute_b32 v11, v1, v15 offset:124
	ds_bpermute_b32 v9, v1, v6 offset:124
	v_add_f32_e32 v3, v4, v5
	ds_bpermute_b32 v14, v1, v7 offset:124
	ds_bpermute_b32 v12, v1, v10 offset:124
	;; [unrolled: 1-line block ×4, first 2 shown]
	v_mbcnt_lo_u32_b32 v1, -1, 0
	s_delay_alu instid0(VALU_DEP_1)
	v_cmpx_eq_u32_e32 0, v1
	s_cbranch_execz .LBB27_16
; %bb.15:
	v_lshrrev_b32_e32 v2, 5, v0
	s_delay_alu instid0(VALU_DEP_1)
	v_mul_u32_u24_e32 v2, 28, v2
	s_wait_dscnt 0x5
	ds_store_2addr_b32 v2, v11, v8 offset0:112 offset1:113
	s_wait_dscnt 0x4
	ds_store_2addr_b32 v2, v9, v14 offset0:114 offset1:115
	;; [unrolled: 2-line block ×3, first 2 shown]
	s_wait_dscnt 0x3
	ds_store_b32 v2, v10 offset:472
.LBB27_16:
	s_or_b32 exec_lo, exec_lo, s0
	s_delay_alu instid0(SALU_CYCLE_1)
	s_mov_b32 s5, exec_lo
	s_wait_dscnt 0x0
	s_barrier_signal -1
	s_barrier_wait -1
	v_cmpx_gt_u32_e32 32, v0
	s_cbranch_execz .LBB27_18
; %bb.17:
	v_and_b32_e32 v18, 7, v1
	s_delay_alu instid0(VALU_DEP_1) | instskip(SKIP_1) | instid1(VALU_DEP_1)
	v_cmp_ne_u32_e32 vcc_lo, 7, v18
	v_add_co_ci_u32_e64 v3, null, 0, v1, vcc_lo
	v_lshlrev_b32_e32 v19, 2, v3
	v_mul_u32_u24_e32 v2, 28, v18
	v_cmp_gt_u32_e32 vcc_lo, 6, v18
	ds_load_2addr_b32 v[4:5], v2 offset0:112 offset1:115
	ds_load_b32 v22, v2 offset:472
	ds_load_2addr_b32 v[8:9], v2 offset0:113 offset1:114
	ds_load_2addr_b32 v[12:13], v2 offset0:116 offset1:117
	v_mov_b64_e32 v[2:3], 0x40c0000040800000
	s_wait_dscnt 0x2
	ds_bpermute_b32 v25, v19, v22
	ds_bpermute_b32 v7, v19, v4
	;; [unrolled: 1-line block ×3, first 2 shown]
	v_dual_mov_b32 v10, v5 :: v_dual_mov_b32 v11, v4
	v_mov_b32_e32 v18, v5
	s_wait_dscnt 0x3
	ds_bpermute_b32 v21, v19, v12
	ds_bpermute_b32 v20, v19, v13
	s_wait_dscnt 0x3
	v_dual_mov_b32 v23, v12 :: v_dual_mov_b32 v24, v7
	v_sub_f32_e32 v35, v4, v7
	s_wait_dscnt 0x2
	v_pk_add_f32 v[14:15], v[6:7], v[10:11] neg_lo:[0,1] neg_hi:[0,1]
	v_lshlrev_b32_e32 v15, 2, v1
	v_pk_add_f32 v[16:17], v[10:11], v[6:7]
	ds_bpermute_b32 v16, v19, v8
	v_cndmask_b32_e64 v10, 0, 2, vcc_lo
	v_mul_f32_e32 v31, v14, v7
	v_dual_mul_f32 v11, v4, v4 :: v_dual_bitop2_b32 v36, 16, v15 bitop3:0x54
	ds_bpermute_b32 v15, v19, v9
	v_add_f32_e32 v38, v22, v25
	v_div_scale_f32 v29, null, v17, v17, v31
	v_div_scale_f32 v25, vcc_lo, v31, v17, v31
	v_add_lshl_u32 v37, v10, v1, 2
	s_delay_alu instid0(VALU_DEP_3)
	v_rcp_f32_e32 v5, v29
	v_pk_mul_f32 v[26:27], v[6:7], v[6:7]
	s_wait_dscnt 0x3
	v_dual_mov_b32 v28, v21 :: v_dual_mov_b32 v26, v7
	s_wait_dscnt 0x2
	v_dual_mov_b32 v10, v4 :: v_dual_add_f32 v22, v13, v20
	v_mov_b32_e32 v30, v7
	v_fma_f32 v19, -v29, v5, 1.0
	v_dual_mov_b32 v34, v17 :: v_dual_mov_b32 v1, v4
	v_mov_b32_e32 v33, v17
	s_wait_dscnt 0x0
	v_cmp_lt_f32_e64 s0, v9, v15
	v_dual_fmac_f32 v5, v19, v5 :: v_dual_fma_f32 v19, -v4, v7, v11
	s_delay_alu instid0(VALU_DEP_2) | instskip(SKIP_1) | instid1(VALU_DEP_3)
	v_cndmask_b32_e64 v39, v9, v15, s0
	v_cmp_lt_f32_e64 s0, v16, v8
	v_dual_mul_f32 v6, v25, v5 :: v_dual_mov_b32 v9, v7
	s_delay_alu instid0(VALU_DEP_4) | instskip(SKIP_1) | instid1(VALU_DEP_4)
	v_add_f32_e32 v41, v27, v19
	v_pk_mul_f32 v[26:27], v[12:13], v[26:27] op_sel:[1,0] op_sel_hi:[0,1]
	v_cndmask_b32_e64 v40, v8, v16, s0
	ds_bpermute_b32 v16, v37, v17
	v_fma_f32 v8, -v29, v6, v25
	ds_bpermute_b32 v43, v37, v39
	v_pk_fma_f32 v[10:11], v[10:11], v[20:21], v[26:27]
	ds_bpermute_b32 v42, v37, v40
	v_fmac_f32_e32 v6, v8, v5
	v_mul_f32_e32 v8, 0x40400000, v14
	s_delay_alu instid0(VALU_DEP_2) | instskip(SKIP_1) | instid1(VALU_DEP_2)
	v_fma_f32 v15, -v29, v6, v25
	v_dual_mov_b32 v25, v17 :: v_dual_mov_b32 v29, v14
	v_div_fmas_f32 v6, v15, v5, v6
	s_wait_dscnt 0x2
	v_dual_mov_b32 v5, v14 :: v_dual_mov_b32 v19, v16
	s_delay_alu instid0(VALU_DEP_2) | instskip(NEXT) | instid1(VALU_DEP_2)
	v_div_fixup_f32 v32, v6, v17, v31
	v_pk_mul_f32 v[28:29], v[4:5], v[28:29]
	v_dual_mov_b32 v31, v17 :: v_dual_mov_b32 v6, v17
	s_wait_dscnt 0x1
	v_cmp_lt_f32_e32 vcc_lo, v39, v43
	v_pk_add_f32 v[18:19], v[18:19], v[32:33]
	v_pk_fma_f32 v[32:33], v[4:5], v[20:21], v[26:27] neg_lo:[0,0,1] neg_hi:[0,0,1]
	v_dual_mul_f32 v5, v14, v29 :: v_dual_mov_b32 v15, v29
	v_pk_mul_f32 v[26:27], v[28:29], v[0:1]
	ds_bpermute_b32 v20, v37, v18
	v_pk_fma_f32 v[12:13], v[12:13], v[24:25], v[28:29] neg_lo:[1,0,0] neg_hi:[1,0,0]
	v_dual_mul_f32 v24, v4, v5 :: v_dual_mov_b32 v33, v11
	v_dual_mul_f32 v1, v14, v5 :: v_dual_mov_b32 v13, v27
	v_pk_mul_f32 v[10:11], v[14:15], v[2:3]
	v_pk_mul_f32 v[14:15], v[16:17], v[16:17] op_sel_hi:[1,0]
	s_delay_alu instid0(VALU_DEP_4) | instskip(NEXT) | instid1(VALU_DEP_4)
	v_pk_mul_f32 v[24:25], v[24:25], v[30:31]
	v_mul_f32_e32 v1, v4, v1
	v_pk_mul_f32 v[8:9], v[12:13], v[8:9]
	v_pk_mul_f32 v[4:5], v[10:11], v[32:33]
	v_dual_sub_f32 v44, v17, v16 :: v_dual_cndmask_b32 v39, v39, v43
	v_dual_sub_f32 v10, v25, v15 :: v_dual_mul_f32 v15, v35, v24
	v_dual_mov_b32 v26, v16 :: v_dual_mov_b32 v11, v16
	v_mov_b32_e32 v35, v19
	s_wait_dscnt 0x1
	v_cmp_lt_f32_e32 vcc_lo, v42, v40
	s_wait_dscnt 0x0
	v_sub_f32_e32 v12, v20, v18
	v_div_scale_f32 v20, null, v17, v17, v9
	v_div_scale_f32 v32, null, v17, v17, v8
	s_delay_alu instid0(VALU_DEP_3) | instskip(SKIP_3) | instid1(VALU_DEP_4)
	v_mul_f32_e32 v13, v12, v12
	v_dual_mul_f32 v30, v12, v16 :: v_dual_mov_b32 v29, v19
	v_dual_mul_f32 v1, v1, v7 :: v_dual_cndmask_b32 v40, v40, v42
	v_mul_f32_e32 v33, v17, v25
	v_mul_f32_e32 v24, v12, v13
	s_delay_alu instid0(VALU_DEP_4) | instskip(SKIP_2) | instid1(VALU_DEP_3)
	v_div_scale_f32 v31, null, v19, v19, v30
	v_add_f32_e32 v10, v14, v10
	v_rcp_f32_e32 v48, v20
	v_mul_f32_e32 v27, v17, v24
	s_delay_alu instid0(VALU_DEP_3)
	v_rcp_f32_e32 v45, v31
	v_mul_f32_e32 v28, v12, v24
	v_rcp_f32_e32 v49, v32
	v_div_scale_f32 v54, s4, v5, v25, v5
	v_mul_f32_e32 v7, v27, v16
	v_mov_b32_e32 v27, v19
	v_pk_mul_f32 v[28:29], v[34:35], v[28:29]
	v_fma_f32 v24, -v31, v45, 1.0
	v_fma_f32 v52, -v20, v48, 1.0
	v_mul_f32_e32 v34, v44, v7
	v_div_scale_f32 v7, vcc_lo, v30, v19, v30
	v_pk_mul_f32 v[26:27], v[28:29], v[26:27]
	v_fmac_f32_e32 v45, v24, v45
	s_delay_alu instid0(VALU_DEP_4) | instskip(SKIP_1) | instid1(VALU_DEP_4)
	v_div_scale_f32 v24, null, v29, v29, v34
	v_div_scale_f32 v28, null, v25, v25, v15
	v_mul_f32_e32 v44, v10, v26
	s_delay_alu instid0(VALU_DEP_3)
	v_rcp_f32_e32 v26, v24
	v_div_scale_f32 v35, s0, v15, v25, v15
	ds_bpermute_b32 v43, v36, v39
	v_div_scale_f32 v46, null, v27, v27, v44
	ds_bpermute_b32 v42, v36, v40
	v_fma_f32 v50, -v24, v26, 1.0
	v_mul_f32_e32 v10, v7, v45
	v_rcp_f32_e32 v51, v46
	v_fmac_f32_e32 v48, v52, v48
	v_fma_f32 v52, -v32, v49, 1.0
	v_fmac_f32_e32 v26, v50, v26
	v_fma_f32 v47, -v31, v10, v7
	v_rcp_f32_e32 v50, v28
	v_mul_f32_e32 v1, v41, v1
	s_delay_alu instid0(VALU_DEP_2) | instskip(SKIP_1) | instid1(VALU_DEP_1)
	v_fmac_f32_e32 v10, v47, v45
	v_div_scale_f32 v47, s1, v34, v29, v34
	v_mul_f32_e32 v53, v47, v26
	s_delay_alu instid0(VALU_DEP_3) | instskip(SKIP_1) | instid1(VALU_DEP_2)
	v_fma_f32 v7, -v31, v10, v7
	v_fma_f32 v31, -v46, v51, 1.0
	v_div_fmas_f32 v7, v7, v45, v10
	v_fma_f32 v10, -v28, v50, 1.0
	s_delay_alu instid0(VALU_DEP_3) | instskip(SKIP_2) | instid1(VALU_DEP_4)
	v_fmac_f32_e32 v51, v31, v51
	v_fma_f32 v31, -v24, v53, v47
	v_div_scale_f32 v45, s2, v44, v27, v44
	v_dual_fmac_f32 v50, v10, v50 :: v_dual_fmac_f32 v49, v52, v49
	s_delay_alu instid0(VALU_DEP_2) | instskip(SKIP_2) | instid1(VALU_DEP_2)
	v_dual_fmac_f32 v53, v31, v26 :: v_dual_mul_f32 v10, v45, v51
	s_mov_b32 vcc_lo, s1
	v_div_scale_f32 v31, s3, v9, v17, v9
	v_dual_fma_f32 v24, -v24, v53, v47 :: v_dual_fma_f32 v52, -v46, v10, v45
	v_mul_f32_e32 v47, v35, v50
	v_div_fixup_f32 v30, v7, v19, v30
	s_delay_alu instid0(VALU_DEP_3) | instskip(SKIP_1) | instid1(VALU_DEP_4)
	v_div_fmas_f32 v53, v24, v26, v53
	v_div_scale_f32 v26, s1, v8, v17, v8
	v_fma_f32 v24, -v28, v47, v35
	v_fmac_f32_e32 v10, v52, v51
	s_mov_b32 vcc_lo, s2
	v_div_scale_f32 v52, null, v25, v25, v5
	s_delay_alu instid0(VALU_DEP_3) | instskip(SKIP_1) | instid1(VALU_DEP_3)
	v_fmac_f32_e32 v47, v24, v50
	v_div_scale_f32 v55, s2, v1, v33, v1
	v_rcp_f32_e32 v41, v52
	v_div_fixup_f32 v34, v53, v29, v34
	s_delay_alu instid0(VALU_DEP_3) | instskip(SKIP_2) | instid1(VALU_DEP_2)
	v_dual_fma_f32 v28, -v28, v47, v35 :: v_dual_mul_f32 v35, v31, v48
	v_fma_f32 v24, -v46, v10, v45
	v_div_scale_f32 v45, null, v17, v17, v4
	v_div_fmas_f32 v46, v24, v51, v10
	v_mul_f32_e32 v10, v26, v49
	s_mov_b32 vcc_lo, s0
	v_fma_f32 v24, -v20, v35, v31
	v_div_fmas_f32 v28, v28, v50, v47
	v_rcp_f32_e32 v51, v45
	v_fma_f32 v50, -v32, v10, v26
	s_mov_b32 vcc_lo, s3
	v_fmac_f32_e32 v35, v24, v48
	v_div_scale_f32 v47, s0, v4, v17, v4
	s_delay_alu instid0(VALU_DEP_3) | instskip(SKIP_1) | instid1(VALU_DEP_2)
	v_fmac_f32_e32 v10, v50, v49
	v_div_scale_f32 v50, null, v33, v33, v1
	v_fma_f32 v24, -v32, v10, v26
	v_fma_f32 v26, -v52, v41, 1.0
	s_delay_alu instid0(VALU_DEP_1) | instskip(NEXT) | instid1(VALU_DEP_1)
	v_dual_fma_f32 v20, -v20, v35, v31 :: v_dual_fmac_f32 v41, v26, v41
	v_div_fmas_f32 v31, v20, v48, v35
	v_div_fixup_f32 v20, v28, v25, v15
	v_fma_f32 v15, -v45, v51, 1.0
	s_mov_b32 vcc_lo, s1
	v_rcp_f32_e32 v35, v50
	v_div_fixup_f32 v9, v31, v17, v9
	v_pk_add_f32 v[20:21], v[22:23], v[20:21]
	v_fmac_f32_e32 v51, v15, v51
	v_div_fmas_f32 v10, v24, v49, v10
	v_mul_f32_e32 v15, v54, v41
	ds_bpermute_b32 v31, v36, v19
	v_mov_b32_e32 v24, v17
	s_mov_b32 vcc_lo, s2
	v_div_fixup_f32 v8, v10, v17, v8
	v_fma_f32 v10, -v50, v35, 1.0
	v_mul_f32_e32 v22, v17, v13
	s_delay_alu instid0(VALU_DEP_3) | instskip(NEXT) | instid1(VALU_DEP_3)
	v_pk_add_f32 v[8:9], v[8:9], v[20:21]
	v_fmac_f32_e32 v35, v10, v35
	v_mul_f32_e32 v21, v47, v51
	s_delay_alu instid0(VALU_DEP_4) | instskip(SKIP_4) | instid1(VALU_DEP_3)
	v_dual_fma_f32 v10, -v52, v15, v54 :: v_dual_mul_f32 v20, v22, v16
	ds_bpermute_b32 v23, v37, v9
	v_dual_mul_f32 v22, v55, v35 :: v_dual_fma_f32 v26, -v45, v21, v47
	v_fmac_f32_e32 v15, v10, v41
	v_div_scale_f32 v48, null, v19, v19, v20
	v_fma_f32 v10, -v50, v22, v55
	s_delay_alu instid0(VALU_DEP_4) | instskip(NEXT) | instid1(VALU_DEP_3)
	v_dual_fmac_f32 v21, v26, v51 :: v_dual_mov_b32 v26, v19
	v_rcp_f32_e32 v49, v48
	v_fma_f32 v28, -v52, v15, v54
	s_delay_alu instid0(VALU_DEP_2) | instskip(SKIP_3) | instid1(TRANS32_DEP_1)
	v_dual_fmac_f32 v22, v10, v35 :: v_dual_fma_f32 v45, -v45, v21, v47
	v_dual_mov_b32 v7, v9 :: v_dual_mov_b32 v32, v19
	s_wait_dscnt 0x1
	v_sub_f32_e32 v52, v19, v31
	v_fma_f32 v47, -v48, v49, 1.0
	s_wait_dscnt 0x0
	v_dual_fma_f32 v50, -v50, v22, v55 :: v_dual_mov_b32 v10, v23
	s_delay_alu instid0(VALU_DEP_2) | instskip(SKIP_1) | instid1(VALU_DEP_3)
	v_fmac_f32_e32 v49, v47, v49
	v_div_scale_f32 v47, s1, v20, v19, v20
	v_pk_mul_f32 v[6:7], v[6:7], v[10:11]
	v_pk_add_f32 v[10:11], v[18:19], v[30:31]
	v_div_fmas_f32 v30, v50, v35, v22
	s_delay_alu instid0(VALU_DEP_4) | instskip(NEXT) | instid1(VALU_DEP_4)
	v_dual_mul_f32 v18, 0x40400000, v12 :: v_dual_mul_f32 v35, v47, v49
	v_sub_f32_e32 v7, v6, v7
	ds_bpermute_b32 v50, v36, v10
	s_mov_b32 vcc_lo, s4
	ds_bpermute_b32 v22, v37, v8
	v_div_fmas_f32 v41, v28, v41, v15
	s_mov_b32 vcc_lo, s0
	v_dual_mov_b32 v6, v31 :: v_dual_mul_f32 v7, v18, v7
	v_fma_f32 v15, -v48, v35, v47
	v_div_fmas_f32 v18, v45, v51, v21
	v_div_fixup_f32 v1, v30, v33, v1
	v_pk_mul_f32 v[12:13], v[12:13], v[2:3]
	v_div_scale_f32 v21, null, v19, v19, v7
	s_delay_alu instid0(VALU_DEP_4) | instskip(SKIP_3) | instid1(VALU_DEP_3)
	v_div_fixup_f32 v45, v18, v17, v4
	v_dual_mov_b32 v17, v14 :: v_dual_fmac_f32 v35, v15, v49
	v_div_fixup_f32 v5, v41, v25, v5
	v_dual_mov_b32 v18, v31 :: v_dual_mov_b32 v28, v19
	v_pk_mul_f32 v[14:15], v[8:9], v[16:17]
	s_wait_dscnt 0x1
	v_dual_sub_f32 v4, v50, v10 :: v_dual_fma_f32 v47, -v48, v35, v47
	v_rcp_f32_e32 v48, v21
	s_wait_dscnt 0x0
	v_pk_add_f32 v[8:9], v[8:9], v[22:23]
	v_pk_fma_f32 v[16:17], v[24:25], v[22:23], v[14:15]
	v_pk_fma_f32 v[14:15], v[24:25], v[22:23], v[14:15] neg_lo:[0,0,1] neg_hi:[0,0,1]
	v_div_scale_f32 v16, vcc_lo, v7, v19, v7
	s_delay_alu instid0(VALU_DEP_4) | instskip(SKIP_1) | instid1(VALU_DEP_2)
	v_dual_add_f32 v1, v38, v1 :: v_dual_add_f32 v33, v8, v34
	v_fma_f32 v30, -v21, v48, 1.0
	v_dual_mul_f32 v50, v4, v31 :: v_dual_add_f32 v1, v5, v1
	s_delay_alu instid0(VALU_DEP_2) | instskip(NEXT) | instid1(VALU_DEP_2)
	v_dual_fmac_f32 v48, v30, v48 :: v_dual_mov_b32 v15, v17
	v_div_scale_f32 v24, null, v11, v11, v50
	v_div_scale_f32 v51, s0, v50, v11, v50
	s_delay_alu instid0(VALU_DEP_3) | instskip(NEXT) | instid1(VALU_DEP_4)
	v_mul_f32_e32 v17, v16, v48
	v_pk_mul_f32 v[12:13], v[12:13], v[14:15]
	s_delay_alu instid0(VALU_DEP_4) | instskip(SKIP_2) | instid1(VALU_DEP_3)
	v_rcp_f32_e32 v25, v24
	v_dual_mov_b32 v30, v4 :: v_dual_mov_b32 v22, v31
	v_add_f32_e32 v1, v45, v1
	v_div_scale_f32 v23, null, v19, v19, v12
	v_fma_f32 v14, -v21, v17, v16
	v_div_scale_f32 v38, null, v29, v29, v13
	s_delay_alu instid0(VALU_DEP_3) | instskip(SKIP_1) | instid1(VALU_DEP_3)
	v_rcp_f32_e32 v34, v23
	v_div_scale_f32 v53, s3, v13, v29, v13
	v_fmac_f32_e32 v17, v14, v48
	v_fma_f32 v14, -v24, v25, 1.0
	v_rcp_f32_e32 v41, v38
	s_delay_alu instid0(VALU_DEP_1) | instskip(NEXT) | instid1(TRANS32_DEP_2)
	v_fmac_f32_e32 v25, v14, v25
	v_fma_f32 v14, -v23, v34, 1.0
	s_delay_alu instid0(TRANS32_DEP_1) | instskip(NEXT) | instid1(VALU_DEP_2)
	v_fma_f32 v15, -v38, v41, 1.0
	v_dual_fmac_f32 v34, v14, v34 :: v_dual_fma_f32 v8, -v21, v17, v16
	s_delay_alu instid0(VALU_DEP_1)
	v_div_fmas_f32 v8, v8, v48, v17
	v_div_scale_f32 v48, s2, v12, v19, v12
	s_mov_b32 vcc_lo, s1
	v_div_fixup_f32 v21, v8, v19, v7
	v_dual_mul_f32 v5, v48, v34 :: v_dual_mul_f32 v54, v51, v25
	v_fmac_f32_e32 v41, v15, v41
	v_mov_b32_e32 v8, v19
	s_delay_alu instid0(VALU_DEP_4) | instskip(NEXT) | instid1(VALU_DEP_4)
	v_pk_add_f32 v[14:15], v[20:21], v[32:33]
	v_dual_fma_f32 v21, -v23, v5, v48 :: v_dual_fma_f32 v14, -v24, v54, v51
	s_delay_alu instid0(VALU_DEP_4)
	v_mul_f32_e32 v32, v53, v41
	ds_bpermute_b32 v7, v36, v15
	v_fma_f32 v33, -v38, v32, v53
	s_wait_dscnt 0x0
	v_pk_mul_f32 v[16:17], v[18:19], v[6:7] op_sel_hi:[1,0]
	v_div_fmas_f32 v18, v47, v49, v35
	v_dual_mov_b32 v6, v9 :: v_dual_fmac_f32 v54, v14, v25
	v_fmac_f32_e32 v5, v21, v34
	v_fmac_f32_e32 v32, v33, v41
	s_delay_alu instid0(VALU_DEP_4)
	v_div_fixup_f32 v14, v18, v19, v20
	ds_bpermute_b32 v9, v37, v1
	v_dual_fma_f32 v18, -v24, v54, v51 :: v_dual_fma_f32 v23, -v23, v5, v48
	v_fma_f32 v33, -v38, v32, v53
	v_pk_add_f32 v[20:21], v[14:15], v[6:7]
	s_mov_b32 vcc_lo, s2
	v_dual_sub_f32 v6, v29, v17 :: v_dual_mov_b32 v24, v31
	v_div_fmas_f32 v37, v23, v34, v5
	s_delay_alu instid0(VALU_DEP_3)
	v_dual_mov_b32 v5, v20 :: v_dual_mov_b32 v35, v11
	s_mov_b32 vcc_lo, s3
	ds_bpermute_b32 v17, v36, v20
	v_div_fmas_f32 v38, v33, v41, v32
	v_pk_mul_f32 v[32:33], v[4:5], v[30:31]
	s_mov_b32 vcc_lo, s0
	v_add_f32_e32 v41, v16, v6
	v_div_fmas_f32 v14, v18, v25, v54
	v_mov_b32_e32 v25, v16
	s_wait_dscnt 0x1
	v_dual_mul_f32 v18, v4, v32 :: v_dual_add_f32 v1, v1, v9
	v_div_fixup_f32 v16, v46, v27, v44
	v_div_fixup_f32 v6, v14, v11, v50
	v_mul_f32_e32 v23, 0x40400000, v4
	s_delay_alu instid0(VALU_DEP_4) | instskip(NEXT) | instid1(VALU_DEP_3)
	v_mul_f32_e32 v27, v19, v18
	v_dual_add_f32 v14, v10, v6 :: v_dual_mov_b32 v10, v19
	s_delay_alu instid0(VALU_DEP_2) | instskip(SKIP_3) | instid1(VALU_DEP_4)
	v_dual_mul_f32 v34, v4, v18 :: v_dual_mul_f32 v6, v27, v31
	v_add_f32_e32 v1, v1, v16
	v_div_fixup_f32 v16, v38, v29, v13
	v_div_fixup_f32 v27, v37, v19, v12
	v_pk_mul_f32 v[12:13], v[10:11], v[34:35]
	s_wait_dscnt 0x0
	v_dual_mul_f32 v34, v52, v6 :: v_dual_mul_f32 v9, v19, v17
	v_mov_b32_e32 v19, v20
	v_dual_add_f32 v1, v16, v1 :: v_dual_mov_b32 v18, v15
	s_delay_alu instid0(VALU_DEP_3) | instskip(NEXT) | instid1(VALU_DEP_4)
	v_div_scale_f32 v15, null, v13, v13, v34
	v_pk_fma_f32 v[8:9], v[4:5], v[30:31], v[8:9] neg_lo:[1,0,0] neg_hi:[1,0,0]
	s_delay_alu instid0(VALU_DEP_3) | instskip(SKIP_1) | instid1(VALU_DEP_4)
	v_add_f32_e32 v1, v27, v1
	v_pk_mul_f32 v[26:27], v[26:27], v[32:33]
	v_rcp_f32_e32 v30, v15
	v_dual_mov_b32 v10, v31 :: v_dual_mov_b32 v16, v7
	v_mov_b32_e32 v27, v9
	v_pk_mul_f32 v[8:9], v[18:19], v[24:25]
	ds_bpermute_b32 v33, v36, v1
	v_fma_f32 v6, -v15, v30, 1.0
	v_pk_mul_f32 v[18:19], v[26:27], v[22:23]
	v_mov_b32_e32 v5, v32
	v_pk_mul_f32 v[22:23], v[12:13], v[10:11]
	v_div_scale_f32 v12, vcc_lo, v34, v13, v34
	s_delay_alu instid0(VALU_DEP_4)
	v_div_scale_f32 v10, null, v11, v11, v19
	v_fmac_f32_e32 v30, v6, v30
	v_pk_mul_f32 v[2:3], v[4:5], v[2:3]
	v_mov_b32_e32 v4, v7
	v_pk_fma_f32 v[6:7], v[28:29], v[16:17], v[8:9]
	v_rcp_f32_e32 v6, v10
	v_div_scale_f32 v24, null, v11, v11, v18
	v_mul_f32_e32 v16, v12, v30
	v_pk_fma_f32 v[4:5], v[28:29], v[4:5], v[8:9] neg_lo:[0,0,1] neg_hi:[0,0,1]
	v_dual_mov_b32 v5, v7 :: v_dual_mul_f32 v22, v41, v22
	s_delay_alu instid0(VALU_DEP_4) | instskip(NEXT) | instid1(TRANS32_DEP_2)
	v_rcp_f32_e32 v9, v24
	v_fma_f32 v8, -v10, v6, 1.0
	v_fma_f32 v7, -v15, v16, v12
	s_delay_alu instid0(VALU_DEP_3) | instskip(SKIP_1) | instid1(VALU_DEP_4)
	v_pk_mul_f32 v[2:3], v[2:3], v[4:5]
	v_div_scale_f32 v4, s0, v19, v11, v19
	v_fmac_f32_e32 v6, v8, v6
	s_delay_alu instid0(TRANS32_DEP_1) | instskip(SKIP_3) | instid1(VALU_DEP_3)
	v_fma_f32 v5, -v24, v9, 1.0
	v_fmac_f32_e32 v16, v7, v30
	v_div_scale_f32 v8, null, v23, v23, v22
	v_div_scale_f32 v25, null, v11, v11, v2
	v_dual_fmac_f32 v9, v5, v9 :: v_dual_fma_f32 v7, -v15, v16, v12
	v_mul_f32_e32 v12, v4, v6
	s_delay_alu instid0(VALU_DEP_4) | instskip(SKIP_4) | instid1(TRANS32_DEP_2)
	v_rcp_f32_e32 v15, v8
	v_div_scale_f32 v5, s1, v18, v11, v18
	v_rcp_f32_e32 v27, v25
	v_div_scale_f32 v29, null, v13, v13, v3
	v_div_fmas_f32 v7, v7, v30, v16
	v_fma_f32 v26, -v8, v15, 1.0
	v_dual_fma_f32 v16, -v10, v12, v4 :: v_dual_mul_f32 v28, v5, v9
	s_delay_alu instid0(VALU_DEP_4) | instskip(NEXT) | instid1(TRANS32_DEP_2)
	v_rcp_f32_e32 v31, v29
	v_fma_f32 v30, -v25, v27, 1.0
	s_delay_alu instid0(VALU_DEP_2) | instskip(SKIP_2) | instid1(TRANS32_DEP_1)
	v_dual_fmac_f32 v15, v26, v15 :: v_dual_fmac_f32 v12, v16, v6
	v_div_scale_f32 v26, s2, v22, v23, v22
	v_fma_f32 v16, -v24, v28, v5
	v_fma_f32 v35, -v29, v31, 1.0
	s_delay_alu instid0(VALU_DEP_4) | instskip(NEXT) | instid1(VALU_DEP_4)
	v_fma_f32 v4, -v10, v12, v4
	v_mul_f32_e32 v32, v26, v15
	s_delay_alu instid0(VALU_DEP_4) | instskip(SKIP_1) | instid1(VALU_DEP_3)
	v_dual_fmac_f32 v27, v30, v27 :: v_dual_fmac_f32 v28, v16, v9
	v_div_scale_f32 v30, s3, v2, v11, v2
	v_fma_f32 v10, -v8, v32, v26
	s_mov_b32 vcc_lo, s0
	v_fmac_f32_e32 v31, v35, v31
	s_delay_alu instid0(VALU_DEP_3) | instskip(SKIP_4) | instid1(VALU_DEP_3)
	v_mul_f32_e32 v16, v30, v27
	v_div_scale_f32 v35, s4, v3, v13, v3
	v_div_fmas_f32 v6, v4, v6, v12
	v_dual_fma_f32 v4, -v24, v28, v5 :: v_dual_fmac_f32 v32, v10, v15
	s_mov_b32 vcc_lo, s1
	v_dual_fma_f32 v5, -v25, v16, v30 :: v_dual_mul_f32 v10, v35, v31
	s_delay_alu instid0(VALU_DEP_2) | instskip(NEXT) | instid1(VALU_DEP_3)
	v_div_fmas_f32 v9, v4, v9, v28
	v_fma_f32 v4, -v8, v32, v26
	s_mov_b32 vcc_lo, s2
	s_wait_dscnt 0x0
	v_add_f32_e32 v1, v1, v33
	v_fma_f32 v8, -v29, v10, v35
	v_div_fmas_f32 v4, v4, v15, v32
	s_mov_b32 vcc_lo, s3
	s_delay_alu instid0(VALU_DEP_2) | instskip(NEXT) | instid1(VALU_DEP_2)
	v_fmac_f32_e32 v10, v8, v31
	v_div_fixup_f32 v8, v4, v23, v22
	s_delay_alu instid0(VALU_DEP_1) | instskip(SKIP_2) | instid1(VALU_DEP_2)
	v_add_f32_e32 v1, v1, v8
	v_fmac_f32_e32 v16, v5, v27
	v_div_fixup_f32 v5, v7, v13, v34
	v_fma_f32 v7, -v25, v16, v30
	s_delay_alu instid0(VALU_DEP_1) | instskip(SKIP_1) | instid1(VALU_DEP_1)
	v_div_fmas_f32 v12, v7, v27, v16
	s_mov_b32 vcc_lo, s4
	v_div_fixup_f32 v2, v12, v11, v2
	v_fma_f32 v4, -v29, v10, v35
	s_delay_alu instid0(VALU_DEP_1) | instskip(SKIP_1) | instid1(VALU_DEP_2)
	v_div_fmas_f32 v7, v4, v31, v10
	v_cmp_lt_f32_e32 vcc_lo, v39, v43
	v_div_fixup_f32 v3, v7, v13, v3
	v_div_fixup_f32 v7, v6, v11, v19
	;; [unrolled: 1-line block ×3, first 2 shown]
	v_cndmask_b32_e32 v9, v39, v43, vcc_lo
	v_cmp_lt_f32_e32 vcc_lo, v42, v40
	v_dual_mov_b32 v4, v17 :: v_dual_add_f32 v1, v3, v1
	v_cndmask_b32_e32 v8, v40, v42, vcc_lo
	s_delay_alu instid0(VALU_DEP_2) | instskip(NEXT) | instid1(VALU_DEP_3)
	v_pk_add_f32 v[4:5], v[20:21], v[4:5]
	v_add_f32_e32 v10, v2, v1
	s_delay_alu instid0(VALU_DEP_2)
	v_pk_add_f32 v[12:13], v[6:7], v[4:5]
.LBB27_18:
	s_or_b32 exec_lo, exec_lo, s5
	s_branch .LBB27_86
.LBB27_19:
                                        ; implicit-def: $vgpr3
                                        ; implicit-def: $vgpr15
                                        ; implicit-def: $vgpr4_vgpr5
                                        ; implicit-def: $sgpr20_sgpr21
	s_branch .LBB27_99
.LBB27_20:
                                        ; implicit-def: $vgpr10_vgpr11
                                        ; implicit-def: $vgpr8_vgpr9
                                        ; implicit-def: $vgpr12_vgpr13
                                        ; implicit-def: $vgpr7
	s_cbranch_execz .LBB27_54
; %bb.21:
	s_sub_co_i32 s24, s8, s24
	s_mov_b32 s0, exec_lo
                                        ; implicit-def: $vgpr7
	v_cmpx_gt_u32_e64 s24, v0
	s_cbranch_execz .LBB27_23
; %bb.22:
	global_load_b32 v7, v0, s[6:7] scale_offset
.LBB27_23:
	s_wait_xcnt 0x0
	s_or_b32 exec_lo, exec_lo, s0
	v_or_b32_e32 v1, 0x100, v0
                                        ; implicit-def: $vgpr3
	s_delay_alu instid0(VALU_DEP_1)
	v_cmp_gt_u32_e64 s1, s24, v1
	s_and_saveexec_b32 s0, s1
	s_cbranch_execz .LBB27_25
; %bb.24:
	global_load_b32 v3, v0, s[6:7] offset:1024 scale_offset
.LBB27_25:
	s_wait_xcnt 0x0
	s_or_b32 exec_lo, exec_lo, s0
	v_or_b32_e32 v1, 0x200, v0
                                        ; implicit-def: $vgpr2
	s_delay_alu instid0(VALU_DEP_1)
	v_cmp_gt_u32_e32 vcc_lo, s24, v1
	s_and_saveexec_b32 s0, vcc_lo
	s_cbranch_execz .LBB27_27
; %bb.26:
	global_load_b32 v2, v0, s[6:7] offset:2048 scale_offset
.LBB27_27:
	s_wait_xcnt 0x0
	s_or_b32 exec_lo, exec_lo, s0
	v_or_b32_e32 v1, 0x300, v0
	s_delay_alu instid0(VALU_DEP_1)
	v_cmp_gt_u32_e64 s0, s24, v1
                                        ; implicit-def: $vgpr1
	s_and_saveexec_b32 s2, s0
	s_cbranch_execz .LBB27_29
; %bb.28:
	global_load_b32 v1, v0, s[6:7] offset:3072 scale_offset
.LBB27_29:
	s_wait_xcnt 0x0
	s_or_b32 exec_lo, exec_lo, s2
	v_mov_b64_e32 v[10:11], 0x3f80000000000000
	s_wait_loadcnt 0x0
	v_dual_mov_b32 v12, 0 :: v_dual_mov_b32 v9, v7
	v_dual_mov_b32 v8, v7 :: v_dual_mov_b32 v13, 0
	s_and_saveexec_b32 s2, s1
	s_cbranch_execnz .LBB27_131
; %bb.30:
	s_or_b32 exec_lo, exec_lo, s2
	s_and_saveexec_b32 s6, vcc_lo
	s_cbranch_execnz .LBB27_132
.LBB27_31:
	s_or_b32 exec_lo, exec_lo, s6
	s_and_saveexec_b32 s5, s0
	s_cbranch_execz .LBB27_33
.LBB27_32:
	v_dual_sub_f32 v2, v1, v7 :: v_dual_mov_b32 v3, 0x40400000
	s_delay_alu instid0(VALU_DEP_2) | instskip(SKIP_4) | instid1(VALU_DEP_1)
	v_pk_fma_f32 v[4:5], v[10:11], v[10:11], v[10:11] neg_lo:[0,0,1] neg_hi:[0,0,1]
	v_add_f32_e32 v6, 0, v10
	v_pk_mul_f32 v[16:17], v[10:11], v[10:11]
	v_add_f32_e32 v16, -1.0, v11
	v_pk_mul_f32 v[14:15], v[2:3], v[2:3] op_sel_hi:[0,1]
	v_dual_mov_b32 v10, v5 :: v_dual_mul_f32 v3, v2, v14
	s_delay_alu instid0(VALU_DEP_1) | instskip(SKIP_1) | instid1(VALU_DEP_3)
	v_pk_add_f32 v[4:5], v[10:11], 1.0 op_sel_hi:[1,0]
	v_dual_mov_b32 v18, v11 :: v_dual_mov_b32 v10, v11
	v_dual_mul_f32 v20, v2, v3 :: v_dual_mul_f32 v3, v11, v3
	s_delay_alu instid0(VALU_DEP_3) | instskip(SKIP_1) | instid1(VALU_DEP_3)
	v_dual_mov_b32 v19, v5 :: v_dual_mov_b32 v21, v5
	v_div_scale_f32 v26, null, v5, v5, v2
	v_dual_mul_f32 v27, v16, v3 :: v_dual_mov_b32 v16, v11
	s_delay_alu instid0(VALU_DEP_3) | instskip(NEXT) | instid1(VALU_DEP_3)
	v_pk_mul_f32 v[18:19], v[18:19], v[20:21]
	v_rcp_f32_e32 v28, v26
	v_mov_b64_e32 v[20:21], 0x40c0000040800000
	s_delay_alu instid0(VALU_DEP_3) | instskip(NEXT) | instid1(VALU_DEP_3)
	v_pk_fma_f32 v[22:23], v[16:17], 0, v[12:13] op_sel_hi:[1,0,1] neg_lo:[0,0,1] neg_hi:[0,0,1]
	v_div_scale_f32 v29, null, v19, v19, v27
	v_pk_fma_f32 v[24:25], v[16:17], 0, v[12:13] op_sel:[0,0,1] op_sel_hi:[1,0,0] neg_lo:[0,0,1] neg_hi:[0,0,1]
	v_pk_fma_f32 v[16:17], v[16:17], 0, v[12:13] op_sel:[0,0,1] op_sel_hi:[1,0,0]
	s_delay_alu instid0(VALU_DEP_4) | instskip(NEXT) | instid1(VALU_DEP_4)
	v_dual_mov_b32 v3, v14 :: v_dual_mov_b32 v11, v22
	v_rcp_f32_e32 v16, v29
	v_pk_mul_f32 v[22:23], v[18:19], v[4:5]
	v_div_scale_f32 v31, s0, v27, v19, v27
	v_fma_f32 v25, -v26, v28, 1.0
	v_div_scale_f32 v4, vcc_lo, v2, v5, v2
	s_delay_alu instid0(TRANS32_DEP_1) | instskip(SKIP_3) | instid1(VALU_DEP_4)
	v_fma_f32 v18, -v29, v16, 1.0
	v_div_scale_f32 v30, null, v23, v23, v22
	v_pk_mul_f32 v[10:11], v[14:15], v[10:11]
	v_div_scale_f32 v34, s1, v22, v23, v22
	v_fmac_f32_e32 v16, v18, v16
	s_delay_alu instid0(VALU_DEP_4) | instskip(NEXT) | instid1(VALU_DEP_3)
	v_rcp_f32_e32 v18, v30
	v_div_scale_f32 v33, null, v5, v5, v11
	s_delay_alu instid0(TRANS32_DEP_1) | instskip(SKIP_1) | instid1(VALU_DEP_2)
	v_fma_f32 v15, -v30, v18, 1.0
	v_fmac_f32_e32 v28, v25, v28
	v_dual_mov_b32 v25, v17 :: v_dual_fmac_f32 v18, v15, v18
	s_delay_alu instid0(VALU_DEP_2) | instskip(SKIP_1) | instid1(VALU_DEP_2)
	v_mul_f32_e32 v32, v4, v28
	v_mul_f32_e32 v17, v31, v16
	v_fma_f32 v14, -v26, v32, v4
	s_delay_alu instid0(VALU_DEP_1) | instskip(NEXT) | instid1(VALU_DEP_1)
	v_dual_fmac_f32 v32, v14, v28 :: v_dual_fma_f32 v14, -v29, v17, v31
	v_fmac_f32_e32 v17, v14, v16
	v_pk_mul_f32 v[14:15], v[2:3], v[20:21]
	v_rcp_f32_e32 v3, v33
	v_mul_f32_e32 v21, v34, v18
	s_delay_alu instid0(VALU_DEP_2) | instskip(SKIP_1) | instid1(TRANS32_DEP_1)
	v_pk_mul_f32 v[14:15], v[14:15], v[24:25]
	v_div_scale_f32 v25, null, v5, v5, v10
	v_fma_f32 v24, -v33, v3, 1.0
	s_delay_alu instid0(VALU_DEP_1) | instskip(SKIP_3) | instid1(VALU_DEP_3)
	v_fmac_f32_e32 v3, v24, v3
	v_dual_fma_f32 v20, -v29, v17, v31 :: v_dual_fma_f32 v4, -v26, v32, v4
	v_div_scale_f32 v26, null, v5, v5, v14
	v_div_scale_f32 v29, null, v19, v19, v15
	v_div_fmas_f32 v4, v4, v28, v32
	s_mov_b32 vcc_lo, s0
	s_delay_alu instid0(VALU_DEP_3)
	v_rcp_f32_e32 v24, v26
	v_div_fmas_f32 v16, v20, v16, v17
	v_rcp_f32_e32 v20, v25
	v_div_scale_f32 v28, s0, v11, v5, v11
	v_rcp_f32_e32 v35, v29
	s_mov_b32 vcc_lo, s1
	s_delay_alu instid0(TRANS32_DEP_3) | instskip(NEXT) | instid1(TRANS32_DEP_2)
	v_fma_f32 v32, -v26, v24, 1.0
	v_fma_f32 v31, -v25, v20, 1.0
	v_fma_f32 v17, -v30, v21, v34
	s_delay_alu instid0(TRANS32_DEP_1) | instskip(NEXT) | instid1(VALU_DEP_2)
	v_fma_f32 v36, -v29, v35, 1.0
	v_dual_fmac_f32 v20, v31, v20 :: v_dual_fmac_f32 v21, v17, v18
	v_mul_f32_e32 v17, v28, v3
	v_div_scale_f32 v31, s2, v10, v5, v10
	s_delay_alu instid0(VALU_DEP_3) | instskip(SKIP_1) | instid1(VALU_DEP_3)
	v_dual_fmac_f32 v24, v32, v24 :: v_dual_fma_f32 v30, -v30, v21, v34
	v_div_scale_f32 v32, s3, v14, v5, v14
	v_dual_fma_f32 v34, -v33, v17, v28 :: v_dual_mul_f32 v37, v31, v20
	s_delay_alu instid0(VALU_DEP_3) | instskip(NEXT) | instid1(VALU_DEP_3)
	v_div_fmas_f32 v18, v30, v18, v21
	v_mul_f32_e32 v38, v32, v24
	s_mov_b32 vcc_lo, s0
	s_delay_alu instid0(VALU_DEP_3) | instskip(SKIP_4) | instid1(VALU_DEP_3)
	v_fmac_f32_e32 v17, v34, v3
	v_fmac_f32_e32 v35, v36, v35
	v_div_scale_f32 v36, s4, v15, v19, v15
	v_dual_fma_f32 v30, -v26, v38, v32 :: v_dual_fma_f32 v21, -v25, v37, v31
	v_div_fixup_f32 v18, v18, v23, v22
	v_dual_mul_f32 v34, v36, v35 :: v_dual_fma_f32 v22, -v33, v17, v28
	s_delay_alu instid0(VALU_DEP_3) | instskip(NEXT) | instid1(VALU_DEP_4)
	v_fmac_f32_e32 v38, v30, v24
	v_dual_fmac_f32 v37, v21, v20 :: v_dual_add_f32 v13, 0, v13
	s_delay_alu instid0(VALU_DEP_4) | instskip(NEXT) | instid1(VALU_DEP_4)
	v_add_f32_e32 v6, v6, v18
	v_fma_f32 v21, -v29, v34, v36
	v_div_fmas_f32 v22, v22, v3, v17
	v_fma_f32 v17, -v26, v38, v32
	s_mov_b32 vcc_lo, s2
	s_delay_alu instid0(VALU_DEP_3) | instskip(SKIP_2) | instid1(VALU_DEP_2)
	v_fmac_f32_e32 v34, v21, v35
	v_fma_f32 v3, -v25, v37, v31
	v_div_fixup_f32 v11, v22, v5, v11
	v_div_fmas_f32 v20, v3, v20, v37
	s_delay_alu instid0(VALU_DEP_4)
	v_fma_f32 v3, -v29, v34, v36
	s_mov_b32 vcc_lo, s3
	v_div_fmas_f32 v21, v17, v24, v38
	s_mov_b32 vcc_lo, s4
	v_div_fixup_f32 v17, v16, v19, v27
	v_div_fmas_f32 v3, v3, v35, v34
	v_cmp_lt_f32_e32 vcc_lo, v1, v8
	v_mov_b32_e32 v16, 0
	v_div_fixup_f32 v14, v21, v5, v14
	v_div_fixup_f32 v10, v20, v5, v10
	;; [unrolled: 1-line block ×3, first 2 shown]
	v_cndmask_b32_e32 v8, v8, v1, vcc_lo
	v_cmp_lt_f32_e32 vcc_lo, v9, v1
	v_div_fixup_f32 v15, v4, v5, v2
	s_delay_alu instid0(VALU_DEP_4) | instskip(SKIP_1) | instid1(VALU_DEP_3)
	v_add_f32_e32 v6, v3, v6
	v_pk_add_f32 v[2:3], v[12:13], v[16:17]
	v_dual_cndmask_b32 v9, v9, v1, vcc_lo :: v_dual_add_f32 v7, v7, v15
	s_delay_alu instid0(VALU_DEP_3) | instskip(NEXT) | instid1(VALU_DEP_3)
	v_add_f32_e32 v4, v14, v6
	v_pk_add_f32 v[12:13], v[10:11], v[2:3]
	s_delay_alu instid0(VALU_DEP_2)
	v_mov_b64_e32 v[10:11], v[4:5]
.LBB27_33:
	s_or_b32 exec_lo, exec_lo, s5
	v_mbcnt_lo_u32_b32 v1, -1, 0
	v_and_b32_e32 v3, 0xe0, v0
	s_min_u32 s5, s24, 0x100
	v_dual_mov_b32 v15, v13 :: v_dual_mov_b32 v14, v12
	s_delay_alu instid0(VALU_DEP_3) | instskip(NEXT) | instid1(VALU_DEP_3)
	v_cmp_ne_u32_e32 vcc_lo, 31, v1
	v_sub_nc_u32_e64 v6, s5, v3 clamp
	v_mov_b32_e32 v3, v11
	v_add_co_ci_u32_e64 v2, null, 0, v1, vcc_lo
	s_delay_alu instid0(VALU_DEP_1)
	v_lshlrev_b32_e32 v2, 2, v2
	ds_bpermute_b32 v17, v2, v11
	ds_bpermute_b32 v18, v2, v8
	;; [unrolled: 1-line block ×7, first 2 shown]
	v_add_nc_u32_e32 v2, 1, v1
	s_delay_alu instid0(VALU_DEP_1) | instskip(SKIP_2) | instid1(SALU_CYCLE_1)
	v_cmp_lt_u32_e32 vcc_lo, v2, v6
	v_mov_b32_e32 v2, v10
	s_and_saveexec_b32 s0, vcc_lo
	s_xor_b32 s6, exec_lo, s0
	s_cbranch_execz .LBB27_35
; %bb.34:
	s_wait_dscnt 0x0
	v_dual_add_f32 v40, v10, v20 :: v_dual_mov_b32 v10, v17
	v_dual_mov_b32 v15, v4 :: v_dual_mov_b32 v22, v11
	v_dual_mov_b32 v23, v12 :: v_dual_mov_b32 v24, v5
	v_mov_b32_e32 v25, v17
	s_delay_alu instid0(VALU_DEP_4) | instskip(SKIP_3) | instid1(VALU_DEP_3)
	v_pk_mul_f32 v[20:21], v[10:11], v[10:11]
	v_mov_b32_e32 v10, v7
	v_dual_mul_f32 v14, v11, v5 :: v_dual_mov_b32 v28, v11
	v_dual_mov_b32 v30, v11 :: v_dual_mov_b32 v32, v17
	v_pk_add_f32 v[26:27], v[16:17], v[10:11] neg_lo:[0,1] neg_hi:[0,1]
	v_pk_add_f32 v[2:3], v[10:11], v[16:17]
	v_sub_f32_e32 v41, v11, v17
	v_pk_add_f32 v[36:37], v[12:13], v[14:15]
	v_pk_fma_f32 v[14:15], v[22:23], v[24:25], v[14:15] op_sel_hi:[1,1,0] neg_lo:[1,0,0] neg_hi:[1,0,0]
	v_dual_mov_b32 v2, v26 :: v_dual_fma_f32 v10, -v11, v17, v21
	v_dual_mov_b32 v31, v21 :: v_dual_mov_b32 v33, v20
	v_mul_f32_e32 v24, v26, v17
	s_delay_alu instid0(VALU_DEP_3) | instskip(NEXT) | instid1(VALU_DEP_4)
	v_pk_mul_f32 v[38:39], v[2:3], v[2:3]
	v_add_f32_e32 v25, v20, v10
	v_dual_mov_b32 v36, v12 :: v_dual_mov_b32 v14, v17
	v_pk_mul_f32 v[12:13], v[12:13], v[32:33] op_sel:[1,0] op_sel_hi:[0,1]
	s_delay_alu instid0(VALU_DEP_4) | instskip(SKIP_3) | instid1(VALU_DEP_4)
	v_pk_mul_f32 v[22:23], v[2:3], v[38:39]
	v_dual_mov_b32 v29, v26 :: v_dual_mov_b32 v2, v11
	v_mov_b32_e32 v39, 0x40400000
	v_mov_b64_e32 v[34:35], 0x40c0000040800000
	v_mul_f32_e32 v16, v11, v22
	v_pk_mul_f32 v[10:11], v[26:27], v[22:23]
	v_mov_b32_e32 v11, v3
	v_div_scale_f32 v27, null, v3, v3, v24
	s_delay_alu instid0(VALU_DEP_4) | instskip(SKIP_1) | instid1(VALU_DEP_4)
	v_mul_f32_e32 v16, v16, v17
	v_pk_fma_f32 v[22:23], v[30:31], v[4:5], v[12:13] neg_lo:[0,0,1] neg_hi:[0,0,1]
	v_pk_mul_f32 v[10:11], v[2:3], v[10:11]
	s_delay_alu instid0(VALU_DEP_4)
	v_rcp_f32_e32 v32, v27
	v_mov_b32_e32 v2, v17
	v_mul_f32_e32 v41, v41, v16
	v_pk_mul_f32 v[20:21], v[28:29], v[38:39]
	v_pk_fma_f32 v[12:13], v[30:31], v[4:5], v[12:13]
	v_div_scale_f32 v29, vcc_lo, v24, v3, v24
	s_delay_alu instid0(VALU_DEP_4) | instskip(SKIP_3) | instid1(VALU_DEP_4)
	v_div_scale_f32 v28, null, v11, v11, v41
	v_fma_f32 v16, -v27, v32, 1.0
	v_pk_mul_f32 v[14:15], v[20:21], v[14:15]
	v_mov_b32_e32 v23, v13
	v_rcp_f32_e32 v33, v28
	s_delay_alu instid0(VALU_DEP_3) | instskip(NEXT) | instid1(VALU_DEP_3)
	v_fmac_f32_e32 v32, v16, v32
	v_div_scale_f32 v4, null, v3, v3, v15
	v_pk_mul_f32 v[16:17], v[10:11], v[2:3]
	v_div_scale_f32 v20, null, v3, v3, v14
	s_delay_alu instid0(TRANS32_DEP_1) | instskip(NEXT) | instid1(VALU_DEP_4)
	v_fma_f32 v12, -v28, v33, 1.0
	v_rcp_f32_e32 v2, v4
	v_div_scale_f32 v42, s1, v15, v3, v15
	s_delay_alu instid0(VALU_DEP_3) | instskip(NEXT) | instid1(VALU_DEP_2)
	v_rcp_f32_e32 v31, v20
	v_fmac_f32_e32 v33, v12, v33
	v_div_scale_f32 v30, s0, v41, v11, v41
	s_delay_alu instid0(VALU_DEP_1) | instskip(NEXT) | instid1(VALU_DEP_1)
	v_dual_mul_f32 v21, v29, v32 :: v_dual_mul_f32 v39, v30, v33
	v_dual_fma_f32 v10, -v27, v21, v29 :: v_dual_fma_f32 v12, -v28, v39, v30
	s_delay_alu instid0(VALU_DEP_1) | instskip(SKIP_1) | instid1(VALU_DEP_3)
	v_fmac_f32_e32 v21, v10, v32
	v_fma_f32 v10, -v4, v2, 1.0
	v_dual_mul_f32 v16, v25, v16 :: v_dual_fmac_f32 v39, v12, v33
	v_fma_f32 v25, -v20, v31, 1.0
	s_delay_alu instid0(VALU_DEP_4) | instskip(NEXT) | instid1(VALU_DEP_4)
	v_dual_fma_f32 v29, -v27, v21, v29 :: v_dual_mov_b32 v27, v38
	v_fmac_f32_e32 v2, v10, v2
	s_delay_alu instid0(VALU_DEP_4) | instskip(NEXT) | instid1(VALU_DEP_3)
	v_fma_f32 v10, -v28, v39, v30
	v_div_fmas_f32 v29, v29, v32, v21
	s_delay_alu instid0(VALU_DEP_4) | instskip(NEXT) | instid1(VALU_DEP_4)
	v_pk_mul_f32 v[12:13], v[26:27], v[34:35]
	v_mul_f32_e32 v21, v42, v2
	v_div_scale_f32 v26, null, v17, v17, v16
	v_fmac_f32_e32 v31, v25, v31
	s_delay_alu instid0(VALU_DEP_4) | instskip(SKIP_1) | instid1(VALU_DEP_4)
	v_pk_mul_f32 v[12:13], v[12:13], v[22:23]
	v_div_scale_f32 v22, s2, v14, v3, v14
	v_rcp_f32_e32 v23, v26
	s_mov_b32 vcc_lo, s0
	s_delay_alu instid0(VALU_DEP_2) | instskip(SKIP_2) | instid1(VALU_DEP_3)
	v_div_scale_f32 v25, null, v11, v11, v13
	v_div_fmas_f32 v10, v10, v33, v39
	v_div_scale_f32 v33, null, v3, v3, v12
	v_rcp_f32_e32 v30, v25
	v_fma_f32 v27, -v4, v21, v42
	v_fma_f32 v28, -v26, v23, 1.0
	v_mul_f32_e32 v32, v22, v31
	v_rcp_f32_e32 v35, v33
	s_mov_b32 vcc_lo, s1
	v_fmac_f32_e32 v21, v27, v2
	v_fma_f32 v34, -v25, v30, 1.0
	v_fmac_f32_e32 v23, v28, v23
	v_div_scale_f32 v28, s0, v16, v17, v16
	s_delay_alu instid0(TRANS32_DEP_1) | instskip(NEXT) | instid1(VALU_DEP_4)
	v_fma_f32 v39, -v33, v35, 1.0
	v_fmac_f32_e32 v30, v34, v30
	v_div_scale_f32 v34, s3, v13, v11, v13
	v_fma_f32 v27, -v20, v32, v22
	s_delay_alu instid0(VALU_DEP_4) | instskip(NEXT) | instid1(VALU_DEP_3)
	v_dual_fma_f32 v4, -v4, v21, v42 :: v_dual_fmac_f32 v35, v39, v35
	v_dual_mul_f32 v42, v34, v30 :: v_dual_mul_f32 v38, v28, v23
	s_delay_alu instid0(VALU_DEP_3) | instskip(SKIP_1) | instid1(VALU_DEP_4)
	v_fmac_f32_e32 v32, v27, v31
	v_div_scale_f32 v39, s4, v12, v3, v12
	v_div_fmas_f32 v2, v4, v2, v21
	s_mov_b32 vcc_lo, s2
	s_delay_alu instid0(VALU_DEP_2) | instskip(SKIP_2) | instid1(VALU_DEP_3)
	v_dual_fma_f32 v4, -v20, v32, v22 :: v_dual_mul_f32 v22, v39, v35
	v_fma_f32 v20, -v25, v42, v34
	v_fma_f32 v27, -v26, v38, v28
	;; [unrolled: 1-line block ×3, first 2 shown]
	s_delay_alu instid0(VALU_DEP_3) | instskip(NEXT) | instid1(VALU_DEP_3)
	v_dual_fmac_f32 v42, v20, v30 :: v_dual_mov_b32 v20, v5
	v_fmac_f32_e32 v38, v27, v23
	v_div_fmas_f32 v27, v4, v31, v32
	s_mov_b32 vcc_lo, s0
	v_fmac_f32_e32 v22, v21, v35
	v_div_fixup_f32 v21, v10, v11, v41
	v_fma_f32 v4, -v26, v38, v28
	s_delay_alu instid0(VALU_DEP_3) | instskip(NEXT) | instid1(VALU_DEP_2)
	v_fma_f32 v10, -v33, v22, v39
	v_div_fmas_f32 v4, v4, v23, v38
	s_mov_b32 vcc_lo, s3
	s_delay_alu instid0(VALU_DEP_1) | instskip(NEXT) | instid1(VALU_DEP_1)
	v_div_fixup_f32 v4, v4, v17, v16
	v_dual_fma_f32 v5, -v25, v42, v34 :: v_dual_add_f32 v16, v40, v4
	s_delay_alu instid0(VALU_DEP_1) | instskip(SKIP_3) | instid1(VALU_DEP_3)
	v_div_fmas_f32 v5, v5, v30, v42
	s_mov_b32 vcc_lo, s4
	v_div_fmas_f32 v17, v10, v35, v22
	v_cmp_lt_f32_e32 vcc_lo, v9, v19
	v_div_fixup_f32 v13, v5, v11, v13
	v_pk_add_f32 v[4:5], v[36:37], v[20:21]
	v_div_fixup_f32 v11, v2, v3, v15
	v_div_fixup_f32 v10, v27, v3, v14
	;; [unrolled: 1-line block ×3, first 2 shown]
	v_cndmask_b32_e32 v9, v9, v19, vcc_lo
	v_cmp_lt_f32_e32 vcc_lo, v18, v8
	v_add_f32_e32 v12, v13, v16
	v_div_fixup_f32 v13, v29, v3, v24
	v_pk_add_f32 v[14:15], v[10:11], v[4:5]
	s_delay_alu instid0(VALU_DEP_3) | instskip(NEXT) | instid1(VALU_DEP_3)
	v_dual_cndmask_b32 v8, v8, v18, vcc_lo :: v_dual_add_f32 v2, v2, v12
	v_add_f32_e32 v7, v7, v13
	s_delay_alu instid0(VALU_DEP_3) | instskip(NEXT) | instid1(VALU_DEP_3)
	v_mov_b64_e32 v[12:13], v[14:15]
	v_mov_b64_e32 v[10:11], v[2:3]
.LBB27_35:
	s_or_b32 exec_lo, exec_lo, s6
	v_cmp_gt_u32_e32 vcc_lo, 30, v1
	v_add_nc_u32_e32 v21, 2, v1
	s_mov_b32 s6, exec_lo
	s_wait_dscnt 0x1
	v_cndmask_b32_e64 v4, 0, 2, vcc_lo
	s_wait_dscnt 0x0
	s_delay_alu instid0(VALU_DEP_1)
	v_add_lshl_u32 v20, v4, v1, 2
	ds_bpermute_b32 v17, v20, v3
	ds_bpermute_b32 v18, v20, v8
	;; [unrolled: 1-line block ×7, first 2 shown]
	v_cmpx_lt_u32_e64 v21, v6
	s_cbranch_execz .LBB27_37
; %bb.36:
	s_wait_dscnt 0x0
	v_dual_add_f32 v40, v10, v20 :: v_dual_mov_b32 v10, v17
	v_dual_mov_b32 v15, v4 :: v_dual_mov_b32 v22, v11
	v_dual_mov_b32 v23, v12 :: v_dual_mov_b32 v24, v5
	v_mov_b32_e32 v25, v17
	s_delay_alu instid0(VALU_DEP_4) | instskip(SKIP_3) | instid1(VALU_DEP_3)
	v_pk_mul_f32 v[20:21], v[10:11], v[10:11]
	v_mov_b32_e32 v10, v7
	v_dual_mul_f32 v14, v11, v5 :: v_dual_mov_b32 v28, v11
	v_dual_mov_b32 v30, v11 :: v_dual_mov_b32 v32, v17
	v_pk_add_f32 v[26:27], v[16:17], v[10:11] neg_lo:[0,1] neg_hi:[0,1]
	v_pk_add_f32 v[2:3], v[10:11], v[16:17]
	v_sub_f32_e32 v41, v11, v17
	v_pk_add_f32 v[36:37], v[12:13], v[14:15]
	v_pk_fma_f32 v[14:15], v[22:23], v[24:25], v[14:15] op_sel_hi:[1,1,0] neg_lo:[1,0,0] neg_hi:[1,0,0]
	v_dual_mov_b32 v2, v26 :: v_dual_fma_f32 v10, -v11, v17, v21
	v_dual_mov_b32 v31, v21 :: v_dual_mov_b32 v33, v20
	v_mul_f32_e32 v24, v26, v17
	s_delay_alu instid0(VALU_DEP_3) | instskip(NEXT) | instid1(VALU_DEP_4)
	v_pk_mul_f32 v[38:39], v[2:3], v[2:3]
	v_add_f32_e32 v25, v20, v10
	v_dual_mov_b32 v36, v12 :: v_dual_mov_b32 v14, v17
	v_pk_mul_f32 v[12:13], v[12:13], v[32:33] op_sel:[1,0] op_sel_hi:[0,1]
	s_delay_alu instid0(VALU_DEP_4) | instskip(SKIP_3) | instid1(VALU_DEP_4)
	v_pk_mul_f32 v[22:23], v[2:3], v[38:39]
	v_dual_mov_b32 v29, v26 :: v_dual_mov_b32 v2, v11
	v_mov_b32_e32 v39, 0x40400000
	v_mov_b64_e32 v[34:35], 0x40c0000040800000
	v_mul_f32_e32 v16, v11, v22
	v_pk_mul_f32 v[10:11], v[26:27], v[22:23]
	v_mov_b32_e32 v11, v3
	v_div_scale_f32 v27, null, v3, v3, v24
	s_delay_alu instid0(VALU_DEP_4) | instskip(SKIP_1) | instid1(VALU_DEP_4)
	v_mul_f32_e32 v16, v16, v17
	v_pk_fma_f32 v[22:23], v[30:31], v[4:5], v[12:13] neg_lo:[0,0,1] neg_hi:[0,0,1]
	v_pk_mul_f32 v[10:11], v[2:3], v[10:11]
	s_delay_alu instid0(VALU_DEP_4)
	v_rcp_f32_e32 v32, v27
	v_mov_b32_e32 v2, v17
	v_mul_f32_e32 v41, v41, v16
	v_pk_mul_f32 v[20:21], v[28:29], v[38:39]
	v_pk_fma_f32 v[12:13], v[30:31], v[4:5], v[12:13]
	v_div_scale_f32 v29, vcc_lo, v24, v3, v24
	s_delay_alu instid0(VALU_DEP_4) | instskip(SKIP_3) | instid1(VALU_DEP_4)
	v_div_scale_f32 v28, null, v11, v11, v41
	v_fma_f32 v16, -v27, v32, 1.0
	v_pk_mul_f32 v[14:15], v[20:21], v[14:15]
	v_mov_b32_e32 v23, v13
	v_rcp_f32_e32 v33, v28
	s_delay_alu instid0(VALU_DEP_3) | instskip(NEXT) | instid1(VALU_DEP_3)
	v_fmac_f32_e32 v32, v16, v32
	v_div_scale_f32 v4, null, v3, v3, v15
	v_pk_mul_f32 v[16:17], v[10:11], v[2:3]
	v_div_scale_f32 v20, null, v3, v3, v14
	s_delay_alu instid0(TRANS32_DEP_1) | instskip(NEXT) | instid1(VALU_DEP_4)
	v_fma_f32 v12, -v28, v33, 1.0
	v_rcp_f32_e32 v2, v4
	v_div_scale_f32 v42, s1, v15, v3, v15
	s_delay_alu instid0(VALU_DEP_3) | instskip(NEXT) | instid1(VALU_DEP_2)
	v_rcp_f32_e32 v31, v20
	v_fmac_f32_e32 v33, v12, v33
	v_div_scale_f32 v30, s0, v41, v11, v41
	s_delay_alu instid0(VALU_DEP_1) | instskip(NEXT) | instid1(VALU_DEP_1)
	v_dual_mul_f32 v21, v29, v32 :: v_dual_mul_f32 v39, v30, v33
	v_dual_fma_f32 v10, -v27, v21, v29 :: v_dual_fma_f32 v12, -v28, v39, v30
	s_delay_alu instid0(VALU_DEP_1) | instskip(SKIP_1) | instid1(VALU_DEP_3)
	v_fmac_f32_e32 v21, v10, v32
	v_fma_f32 v10, -v4, v2, 1.0
	v_dual_mul_f32 v16, v25, v16 :: v_dual_fmac_f32 v39, v12, v33
	v_fma_f32 v25, -v20, v31, 1.0
	s_delay_alu instid0(VALU_DEP_4) | instskip(NEXT) | instid1(VALU_DEP_4)
	v_dual_fma_f32 v29, -v27, v21, v29 :: v_dual_mov_b32 v27, v38
	v_fmac_f32_e32 v2, v10, v2
	s_delay_alu instid0(VALU_DEP_4) | instskip(NEXT) | instid1(VALU_DEP_3)
	v_fma_f32 v10, -v28, v39, v30
	v_div_fmas_f32 v29, v29, v32, v21
	s_delay_alu instid0(VALU_DEP_4) | instskip(NEXT) | instid1(VALU_DEP_4)
	v_pk_mul_f32 v[12:13], v[26:27], v[34:35]
	v_mul_f32_e32 v21, v42, v2
	v_div_scale_f32 v26, null, v17, v17, v16
	v_fmac_f32_e32 v31, v25, v31
	s_delay_alu instid0(VALU_DEP_4) | instskip(SKIP_1) | instid1(VALU_DEP_4)
	v_pk_mul_f32 v[12:13], v[12:13], v[22:23]
	v_div_scale_f32 v22, s2, v14, v3, v14
	v_rcp_f32_e32 v23, v26
	s_mov_b32 vcc_lo, s0
	s_delay_alu instid0(VALU_DEP_2) | instskip(SKIP_2) | instid1(VALU_DEP_3)
	v_div_scale_f32 v25, null, v11, v11, v13
	v_div_fmas_f32 v10, v10, v33, v39
	v_div_scale_f32 v33, null, v3, v3, v12
	v_rcp_f32_e32 v30, v25
	v_fma_f32 v27, -v4, v21, v42
	v_fma_f32 v28, -v26, v23, 1.0
	v_mul_f32_e32 v32, v22, v31
	v_rcp_f32_e32 v35, v33
	s_mov_b32 vcc_lo, s1
	v_fmac_f32_e32 v21, v27, v2
	v_fma_f32 v34, -v25, v30, 1.0
	v_fmac_f32_e32 v23, v28, v23
	v_div_scale_f32 v28, s0, v16, v17, v16
	s_delay_alu instid0(TRANS32_DEP_1) | instskip(NEXT) | instid1(VALU_DEP_4)
	v_fma_f32 v39, -v33, v35, 1.0
	v_fmac_f32_e32 v30, v34, v30
	v_div_scale_f32 v34, s3, v13, v11, v13
	v_fma_f32 v27, -v20, v32, v22
	s_delay_alu instid0(VALU_DEP_4) | instskip(NEXT) | instid1(VALU_DEP_3)
	v_dual_fma_f32 v4, -v4, v21, v42 :: v_dual_fmac_f32 v35, v39, v35
	v_dual_mul_f32 v42, v34, v30 :: v_dual_mul_f32 v38, v28, v23
	s_delay_alu instid0(VALU_DEP_3) | instskip(SKIP_1) | instid1(VALU_DEP_4)
	v_fmac_f32_e32 v32, v27, v31
	v_div_scale_f32 v39, s4, v12, v3, v12
	v_div_fmas_f32 v2, v4, v2, v21
	s_mov_b32 vcc_lo, s2
	s_delay_alu instid0(VALU_DEP_2) | instskip(SKIP_2) | instid1(VALU_DEP_3)
	v_dual_fma_f32 v4, -v20, v32, v22 :: v_dual_mul_f32 v22, v39, v35
	v_fma_f32 v20, -v25, v42, v34
	v_fma_f32 v27, -v26, v38, v28
	;; [unrolled: 1-line block ×3, first 2 shown]
	s_delay_alu instid0(VALU_DEP_3) | instskip(NEXT) | instid1(VALU_DEP_3)
	v_dual_fmac_f32 v42, v20, v30 :: v_dual_mov_b32 v20, v5
	v_fmac_f32_e32 v38, v27, v23
	v_div_fmas_f32 v27, v4, v31, v32
	s_mov_b32 vcc_lo, s0
	v_fmac_f32_e32 v22, v21, v35
	v_div_fixup_f32 v21, v10, v11, v41
	v_fma_f32 v4, -v26, v38, v28
	s_delay_alu instid0(VALU_DEP_3) | instskip(NEXT) | instid1(VALU_DEP_2)
	v_fma_f32 v10, -v33, v22, v39
	v_div_fmas_f32 v4, v4, v23, v38
	s_mov_b32 vcc_lo, s3
	s_delay_alu instid0(VALU_DEP_1) | instskip(NEXT) | instid1(VALU_DEP_1)
	v_div_fixup_f32 v4, v4, v17, v16
	v_dual_fma_f32 v5, -v25, v42, v34 :: v_dual_add_f32 v16, v40, v4
	s_delay_alu instid0(VALU_DEP_1) | instskip(SKIP_3) | instid1(VALU_DEP_3)
	v_div_fmas_f32 v5, v5, v30, v42
	s_mov_b32 vcc_lo, s4
	v_div_fmas_f32 v17, v10, v35, v22
	v_cmp_lt_f32_e32 vcc_lo, v9, v19
	v_div_fixup_f32 v13, v5, v11, v13
	v_pk_add_f32 v[4:5], v[36:37], v[20:21]
	v_div_fixup_f32 v11, v2, v3, v15
	v_div_fixup_f32 v10, v27, v3, v14
	;; [unrolled: 1-line block ×3, first 2 shown]
	v_cndmask_b32_e32 v9, v9, v19, vcc_lo
	v_cmp_lt_f32_e32 vcc_lo, v18, v8
	v_add_f32_e32 v12, v13, v16
	v_div_fixup_f32 v13, v29, v3, v24
	v_pk_add_f32 v[14:15], v[10:11], v[4:5]
	s_delay_alu instid0(VALU_DEP_3) | instskip(NEXT) | instid1(VALU_DEP_3)
	v_dual_cndmask_b32 v8, v8, v18, vcc_lo :: v_dual_add_f32 v2, v2, v12
	v_add_f32_e32 v7, v7, v13
	s_delay_alu instid0(VALU_DEP_3) | instskip(NEXT) | instid1(VALU_DEP_3)
	v_mov_b64_e32 v[12:13], v[14:15]
	v_mov_b64_e32 v[10:11], v[2:3]
.LBB27_37:
	s_or_b32 exec_lo, exec_lo, s6
	v_cmp_gt_u32_e32 vcc_lo, 28, v1
	v_add_nc_u32_e32 v21, 4, v1
	s_mov_b32 s6, exec_lo
	s_wait_dscnt 0x1
	v_cndmask_b32_e64 v4, 0, 4, vcc_lo
	s_wait_dscnt 0x0
	s_delay_alu instid0(VALU_DEP_1)
	v_add_lshl_u32 v20, v4, v1, 2
	ds_bpermute_b32 v17, v20, v3
	ds_bpermute_b32 v18, v20, v8
	;; [unrolled: 1-line block ×7, first 2 shown]
	v_cmpx_lt_u32_e64 v21, v6
	s_cbranch_execz .LBB27_39
; %bb.38:
	s_wait_dscnt 0x0
	v_dual_add_f32 v40, v10, v20 :: v_dual_mov_b32 v10, v17
	v_dual_mov_b32 v15, v4 :: v_dual_mov_b32 v22, v11
	v_dual_mov_b32 v23, v12 :: v_dual_mov_b32 v24, v5
	v_mov_b32_e32 v25, v17
	s_delay_alu instid0(VALU_DEP_4) | instskip(SKIP_2) | instid1(VALU_DEP_3)
	v_pk_mul_f32 v[20:21], v[10:11], v[10:11]
	v_mov_b32_e32 v10, v7
	v_dual_mul_f32 v14, v11, v5 :: v_dual_mov_b32 v29, 0x40400000
	v_dual_mov_b32 v30, v11 :: v_dual_mov_b32 v31, v21
	s_delay_alu instid0(VALU_DEP_4) | instskip(NEXT) | instid1(VALU_DEP_4)
	v_mov_b32_e32 v33, v20
	v_pk_add_f32 v[26:27], v[16:17], v[10:11] neg_lo:[0,1] neg_hi:[0,1]
	v_pk_add_f32 v[2:3], v[10:11], v[16:17]
	v_mov_b32_e32 v28, v11
	v_pk_add_f32 v[38:39], v[12:13], v[14:15]
	v_pk_fma_f32 v[14:15], v[22:23], v[24:25], v[14:15] op_sel_hi:[1,1,0] neg_lo:[1,0,0] neg_hi:[1,0,0]
	v_dual_mov_b32 v2, v26 :: v_dual_mov_b32 v14, v17
	v_dual_sub_f32 v16, v11, v17 :: v_dual_mov_b32 v32, v17
	v_mov_b32_e32 v38, v12
	s_delay_alu instid0(VALU_DEP_3) | instskip(SKIP_1) | instid1(VALU_DEP_4)
	v_pk_mul_f32 v[36:37], v[2:3], v[2:3]
	v_mov_b64_e32 v[34:35], 0x40c0000040800000
	v_pk_mul_f32 v[12:13], v[12:13], v[32:33] op_sel:[1,0] op_sel_hi:[0,1]
	s_delay_alu instid0(VALU_DEP_3) | instskip(SKIP_1) | instid1(VALU_DEP_2)
	v_pk_mul_f32 v[22:23], v[2:3], v[36:37]
	v_dual_fma_f32 v2, -v11, v17, v21 :: v_dual_mul_f32 v24, v26, v17
	v_mul_f32_e32 v21, v11, v22
	s_delay_alu instid0(VALU_DEP_2) | instskip(NEXT) | instid1(VALU_DEP_4)
	v_dual_add_f32 v25, v20, v2 :: v_dual_mov_b32 v2, v11
	v_pk_mul_f32 v[10:11], v[26:27], v[22:23]
	s_delay_alu instid0(VALU_DEP_3) | instskip(SKIP_2) | instid1(VALU_DEP_3)
	v_dual_mov_b32 v11, v3 :: v_dual_mul_f32 v20, v21, v17
	v_div_scale_f32 v27, null, v3, v3, v24
	v_mov_b32_e32 v37, v26
	v_pk_mul_f32 v[10:11], v[2:3], v[10:11]
	s_delay_alu instid0(VALU_DEP_4) | instskip(NEXT) | instid1(VALU_DEP_4)
	v_mul_f32_e32 v41, v16, v20
	v_rcp_f32_e32 v32, v27
	v_pk_fma_f32 v[22:23], v[30:31], v[4:5], v[12:13] neg_lo:[0,0,1] neg_hi:[0,0,1]
	v_pk_mul_f32 v[20:21], v[28:29], v[36:37]
	v_div_scale_f32 v29, vcc_lo, v24, v3, v24
	v_div_scale_f32 v28, null, v11, v11, v41
	s_delay_alu instid0(TRANS32_DEP_1) | instskip(SKIP_2) | instid1(VALU_DEP_4)
	v_fma_f32 v16, -v27, v32, 1.0
	v_mov_b32_e32 v2, v17
	v_pk_mul_f32 v[14:15], v[20:21], v[14:15]
	v_rcp_f32_e32 v33, v28
	v_pk_fma_f32 v[12:13], v[30:31], v[4:5], v[12:13]
	v_fmac_f32_e32 v32, v16, v32
	v_div_scale_f32 v30, s0, v41, v11, v41
	v_div_scale_f32 v4, null, v3, v3, v15
	s_delay_alu instid0(TRANS32_DEP_1) | instskip(NEXT) | instid1(VALU_DEP_4)
	v_fma_f32 v12, -v28, v33, 1.0
	v_mul_f32_e32 v21, v29, v32
	v_div_scale_f32 v20, null, v3, v3, v14
	v_pk_mul_f32 v[16:17], v[10:11], v[2:3]
	s_delay_alu instid0(VALU_DEP_4) | instskip(NEXT) | instid1(VALU_DEP_4)
	v_fmac_f32_e32 v33, v12, v33
	v_fma_f32 v10, -v27, v21, v29
	v_rcp_f32_e32 v2, v4
	v_rcp_f32_e32 v31, v20
	s_delay_alu instid0(VALU_DEP_2) | instskip(NEXT) | instid1(VALU_DEP_2)
	v_dual_mul_f32 v16, v25, v16 :: v_dual_mul_f32 v37, v30, v33
	v_dual_mov_b32 v23, v13 :: v_dual_fmac_f32 v21, v10, v32
	v_div_scale_f32 v42, s1, v15, v3, v15
	s_delay_alu instid0(TRANS32_DEP_2) | instskip(NEXT) | instid1(VALU_DEP_4)
	v_fma_f32 v10, -v4, v2, 1.0
	v_fma_f32 v12, -v28, v37, v30
	s_delay_alu instid0(TRANS32_DEP_1) | instskip(SKIP_1) | instid1(VALU_DEP_3)
	v_fma_f32 v25, -v20, v31, 1.0
	v_dual_fma_f32 v29, -v27, v21, v29 :: v_dual_mov_b32 v27, v36
	v_dual_fmac_f32 v2, v10, v2 :: v_dual_fmac_f32 v37, v12, v33
	s_delay_alu instid0(VALU_DEP_3) | instskip(NEXT) | instid1(VALU_DEP_3)
	v_fmac_f32_e32 v31, v25, v31
	v_div_fmas_f32 v29, v29, v32, v21
	s_delay_alu instid0(VALU_DEP_4) | instskip(SKIP_3) | instid1(VALU_DEP_3)
	v_pk_mul_f32 v[12:13], v[26:27], v[34:35]
	v_div_scale_f32 v26, null, v17, v17, v16
	v_mul_f32_e32 v21, v42, v2
	s_mov_b32 vcc_lo, s0
	v_pk_mul_f32 v[12:13], v[12:13], v[22:23]
	s_delay_alu instid0(VALU_DEP_3) | instskip(SKIP_2) | instid1(VALU_DEP_3)
	v_rcp_f32_e32 v23, v26
	v_div_scale_f32 v22, s2, v14, v3, v14
	v_fma_f32 v10, -v28, v37, v30
	v_div_scale_f32 v25, null, v11, v11, v13
	s_delay_alu instid0(VALU_DEP_3) | instskip(NEXT) | instid1(TRANS32_DEP_1)
	v_mul_f32_e32 v32, v22, v31
	v_fma_f32 v28, -v26, v23, 1.0
	s_delay_alu instid0(VALU_DEP_4) | instskip(NEXT) | instid1(VALU_DEP_4)
	v_div_fmas_f32 v10, v10, v33, v37
	v_rcp_f32_e32 v30, v25
	v_div_scale_f32 v33, null, v3, v3, v12
	v_fma_f32 v27, -v4, v21, v42
	v_fmac_f32_e32 v23, v28, v23
	v_div_scale_f32 v28, s0, v16, v17, v16
	s_delay_alu instid0(TRANS32_DEP_1) | instskip(SKIP_1) | instid1(VALU_DEP_2)
	v_fma_f32 v34, -v25, v30, 1.0
	v_rcp_f32_e32 v35, v33
	v_dual_fmac_f32 v21, v27, v2 :: v_dual_mul_f32 v36, v28, v23
	s_mov_b32 vcc_lo, s1
	s_delay_alu instid0(VALU_DEP_2) | instskip(SKIP_2) | instid1(TRANS32_DEP_1)
	v_fmac_f32_e32 v30, v34, v30
	v_div_scale_f32 v34, s3, v13, v11, v13
	v_fma_f32 v27, -v20, v32, v22
	v_fma_f32 v37, -v33, v35, 1.0
	s_delay_alu instid0(VALU_DEP_3) | instskip(NEXT) | instid1(VALU_DEP_3)
	v_dual_fma_f32 v4, -v4, v21, v42 :: v_dual_mul_f32 v42, v34, v30
	v_fmac_f32_e32 v32, v27, v31
	s_delay_alu instid0(VALU_DEP_3) | instskip(SKIP_1) | instid1(VALU_DEP_4)
	v_dual_fma_f32 v27, -v26, v36, v28 :: v_dual_fmac_f32 v35, v37, v35
	v_div_scale_f32 v37, s4, v12, v3, v12
	v_div_fmas_f32 v2, v4, v2, v21
	s_delay_alu instid0(VALU_DEP_3) | instskip(SKIP_3) | instid1(VALU_DEP_3)
	v_dual_fma_f32 v4, -v20, v32, v22 :: v_dual_fmac_f32 v36, v27, v23
	s_mov_b32 vcc_lo, s2
	v_fma_f32 v20, -v25, v42, v34
	v_mul_f32_e32 v22, v37, v35
	v_div_fmas_f32 v27, v4, v31, v32
	v_fma_f32 v4, -v26, v36, v28
	s_mov_b32 vcc_lo, s0
	v_dual_fmac_f32 v42, v20, v30 :: v_dual_mov_b32 v20, v5
	v_fma_f32 v21, -v33, v22, v37
	s_delay_alu instid0(VALU_DEP_3) | instskip(SKIP_1) | instid1(VALU_DEP_3)
	v_div_fmas_f32 v4, v4, v23, v36
	s_mov_b32 vcc_lo, s3
	v_fma_f32 v5, -v25, v42, v34
	s_delay_alu instid0(VALU_DEP_2) | instskip(SKIP_2) | instid1(VALU_DEP_4)
	v_div_fixup_f32 v4, v4, v17, v16
	v_fmac_f32_e32 v22, v21, v35
	v_div_fixup_f32 v21, v10, v11, v41
	v_div_fmas_f32 v5, v5, v30, v42
	s_mov_b32 vcc_lo, s4
	s_delay_alu instid0(VALU_DEP_3) | instskip(NEXT) | instid1(VALU_DEP_2)
	v_dual_add_f32 v16, v40, v4 :: v_dual_fma_f32 v10, -v33, v22, v37
	v_div_fixup_f32 v13, v5, v11, v13
	v_pk_add_f32 v[4:5], v[38:39], v[20:21]
	v_div_fixup_f32 v11, v2, v3, v15
	s_delay_alu instid0(VALU_DEP_4) | instskip(SKIP_2) | instid1(VALU_DEP_3)
	v_div_fmas_f32 v17, v10, v35, v22
	v_cmp_lt_f32_e32 vcc_lo, v9, v19
	v_div_fixup_f32 v10, v27, v3, v14
	v_div_fixup_f32 v2, v17, v3, v12
	v_cndmask_b32_e32 v9, v9, v19, vcc_lo
	v_cmp_lt_f32_e32 vcc_lo, v18, v8
	v_add_f32_e32 v12, v13, v16
	v_div_fixup_f32 v13, v29, v3, v24
	v_pk_add_f32 v[14:15], v[10:11], v[4:5]
	s_delay_alu instid0(VALU_DEP_3) | instskip(NEXT) | instid1(VALU_DEP_3)
	v_dual_cndmask_b32 v8, v8, v18, vcc_lo :: v_dual_add_f32 v2, v2, v12
	v_add_f32_e32 v7, v7, v13
	s_delay_alu instid0(VALU_DEP_3) | instskip(NEXT) | instid1(VALU_DEP_3)
	v_mov_b64_e32 v[12:13], v[14:15]
	v_mov_b64_e32 v[10:11], v[2:3]
.LBB27_39:
	s_or_b32 exec_lo, exec_lo, s6
	v_cmp_gt_u32_e32 vcc_lo, 24, v1
	v_add_nc_u32_e32 v21, 8, v1
	s_mov_b32 s6, exec_lo
	s_wait_dscnt 0x1
	v_cndmask_b32_e64 v4, 0, 8, vcc_lo
	s_wait_dscnt 0x0
	s_delay_alu instid0(VALU_DEP_1)
	v_add_lshl_u32 v20, v4, v1, 2
	ds_bpermute_b32 v17, v20, v3
	ds_bpermute_b32 v18, v20, v8
	;; [unrolled: 1-line block ×7, first 2 shown]
	v_cmpx_lt_u32_e64 v21, v6
	s_cbranch_execz .LBB27_41
; %bb.40:
	s_wait_dscnt 0x0
	v_dual_add_f32 v40, v10, v20 :: v_dual_mov_b32 v10, v17
	v_dual_mov_b32 v15, v4 :: v_dual_mov_b32 v22, v11
	v_dual_mov_b32 v23, v12 :: v_dual_mov_b32 v24, v5
	v_mov_b32_e32 v25, v17
	s_delay_alu instid0(VALU_DEP_4) | instskip(SKIP_2) | instid1(VALU_DEP_3)
	v_pk_mul_f32 v[20:21], v[10:11], v[10:11]
	v_mov_b32_e32 v10, v7
	v_dual_mul_f32 v14, v11, v5 :: v_dual_mov_b32 v29, 0x40400000
	v_dual_mov_b32 v30, v11 :: v_dual_mov_b32 v31, v21
	s_delay_alu instid0(VALU_DEP_4) | instskip(NEXT) | instid1(VALU_DEP_4)
	v_mov_b32_e32 v33, v20
	v_pk_add_f32 v[26:27], v[16:17], v[10:11] neg_lo:[0,1] neg_hi:[0,1]
	v_pk_add_f32 v[2:3], v[10:11], v[16:17]
	v_mov_b32_e32 v28, v11
	v_pk_add_f32 v[38:39], v[12:13], v[14:15]
	v_pk_fma_f32 v[14:15], v[22:23], v[24:25], v[14:15] op_sel_hi:[1,1,0] neg_lo:[1,0,0] neg_hi:[1,0,0]
	v_dual_mov_b32 v2, v26 :: v_dual_mov_b32 v14, v17
	v_dual_sub_f32 v16, v11, v17 :: v_dual_mov_b32 v32, v17
	v_mov_b32_e32 v38, v12
	s_delay_alu instid0(VALU_DEP_3) | instskip(SKIP_1) | instid1(VALU_DEP_4)
	v_pk_mul_f32 v[36:37], v[2:3], v[2:3]
	v_mov_b64_e32 v[34:35], 0x40c0000040800000
	v_pk_mul_f32 v[12:13], v[12:13], v[32:33] op_sel:[1,0] op_sel_hi:[0,1]
	s_delay_alu instid0(VALU_DEP_3) | instskip(SKIP_1) | instid1(VALU_DEP_2)
	v_pk_mul_f32 v[22:23], v[2:3], v[36:37]
	v_dual_fma_f32 v2, -v11, v17, v21 :: v_dual_mul_f32 v24, v26, v17
	v_mul_f32_e32 v21, v11, v22
	s_delay_alu instid0(VALU_DEP_2) | instskip(NEXT) | instid1(VALU_DEP_4)
	v_dual_add_f32 v25, v20, v2 :: v_dual_mov_b32 v2, v11
	v_pk_mul_f32 v[10:11], v[26:27], v[22:23]
	s_delay_alu instid0(VALU_DEP_3) | instskip(SKIP_2) | instid1(VALU_DEP_3)
	v_dual_mov_b32 v11, v3 :: v_dual_mul_f32 v20, v21, v17
	v_div_scale_f32 v27, null, v3, v3, v24
	v_mov_b32_e32 v37, v26
	v_pk_mul_f32 v[10:11], v[2:3], v[10:11]
	s_delay_alu instid0(VALU_DEP_4) | instskip(NEXT) | instid1(VALU_DEP_4)
	v_mul_f32_e32 v41, v16, v20
	v_rcp_f32_e32 v32, v27
	v_pk_fma_f32 v[22:23], v[30:31], v[4:5], v[12:13] neg_lo:[0,0,1] neg_hi:[0,0,1]
	v_pk_mul_f32 v[20:21], v[28:29], v[36:37]
	v_div_scale_f32 v29, vcc_lo, v24, v3, v24
	v_div_scale_f32 v28, null, v11, v11, v41
	s_delay_alu instid0(TRANS32_DEP_1) | instskip(SKIP_2) | instid1(VALU_DEP_4)
	v_fma_f32 v16, -v27, v32, 1.0
	v_mov_b32_e32 v2, v17
	v_pk_mul_f32 v[14:15], v[20:21], v[14:15]
	v_rcp_f32_e32 v33, v28
	v_pk_fma_f32 v[12:13], v[30:31], v[4:5], v[12:13]
	v_fmac_f32_e32 v32, v16, v32
	v_div_scale_f32 v30, s0, v41, v11, v41
	v_div_scale_f32 v4, null, v3, v3, v15
	s_delay_alu instid0(TRANS32_DEP_1) | instskip(NEXT) | instid1(VALU_DEP_4)
	v_fma_f32 v12, -v28, v33, 1.0
	v_mul_f32_e32 v21, v29, v32
	v_div_scale_f32 v20, null, v3, v3, v14
	v_pk_mul_f32 v[16:17], v[10:11], v[2:3]
	s_delay_alu instid0(VALU_DEP_4) | instskip(NEXT) | instid1(VALU_DEP_4)
	v_fmac_f32_e32 v33, v12, v33
	v_fma_f32 v10, -v27, v21, v29
	v_rcp_f32_e32 v2, v4
	v_rcp_f32_e32 v31, v20
	s_delay_alu instid0(VALU_DEP_2) | instskip(NEXT) | instid1(VALU_DEP_2)
	v_dual_mul_f32 v16, v25, v16 :: v_dual_mul_f32 v37, v30, v33
	v_dual_mov_b32 v23, v13 :: v_dual_fmac_f32 v21, v10, v32
	v_div_scale_f32 v42, s1, v15, v3, v15
	s_delay_alu instid0(TRANS32_DEP_2) | instskip(NEXT) | instid1(VALU_DEP_4)
	v_fma_f32 v10, -v4, v2, 1.0
	v_fma_f32 v12, -v28, v37, v30
	s_delay_alu instid0(TRANS32_DEP_1) | instskip(SKIP_1) | instid1(VALU_DEP_3)
	v_fma_f32 v25, -v20, v31, 1.0
	v_dual_fma_f32 v29, -v27, v21, v29 :: v_dual_mov_b32 v27, v36
	v_dual_fmac_f32 v2, v10, v2 :: v_dual_fmac_f32 v37, v12, v33
	s_delay_alu instid0(VALU_DEP_3) | instskip(NEXT) | instid1(VALU_DEP_3)
	v_fmac_f32_e32 v31, v25, v31
	v_div_fmas_f32 v29, v29, v32, v21
	s_delay_alu instid0(VALU_DEP_4) | instskip(SKIP_3) | instid1(VALU_DEP_3)
	v_pk_mul_f32 v[12:13], v[26:27], v[34:35]
	v_div_scale_f32 v26, null, v17, v17, v16
	v_mul_f32_e32 v21, v42, v2
	s_mov_b32 vcc_lo, s0
	v_pk_mul_f32 v[12:13], v[12:13], v[22:23]
	s_delay_alu instid0(VALU_DEP_3) | instskip(SKIP_2) | instid1(VALU_DEP_3)
	v_rcp_f32_e32 v23, v26
	v_div_scale_f32 v22, s2, v14, v3, v14
	v_fma_f32 v10, -v28, v37, v30
	v_div_scale_f32 v25, null, v11, v11, v13
	s_delay_alu instid0(VALU_DEP_3) | instskip(NEXT) | instid1(TRANS32_DEP_1)
	v_mul_f32_e32 v32, v22, v31
	v_fma_f32 v28, -v26, v23, 1.0
	s_delay_alu instid0(VALU_DEP_4) | instskip(NEXT) | instid1(VALU_DEP_4)
	v_div_fmas_f32 v10, v10, v33, v37
	v_rcp_f32_e32 v30, v25
	v_div_scale_f32 v33, null, v3, v3, v12
	v_fma_f32 v27, -v4, v21, v42
	v_fmac_f32_e32 v23, v28, v23
	v_div_scale_f32 v28, s0, v16, v17, v16
	s_delay_alu instid0(TRANS32_DEP_1) | instskip(SKIP_1) | instid1(VALU_DEP_2)
	v_fma_f32 v34, -v25, v30, 1.0
	v_rcp_f32_e32 v35, v33
	v_dual_fmac_f32 v21, v27, v2 :: v_dual_mul_f32 v36, v28, v23
	s_mov_b32 vcc_lo, s1
	s_delay_alu instid0(VALU_DEP_2) | instskip(SKIP_2) | instid1(TRANS32_DEP_1)
	v_fmac_f32_e32 v30, v34, v30
	v_div_scale_f32 v34, s3, v13, v11, v13
	v_fma_f32 v27, -v20, v32, v22
	v_fma_f32 v37, -v33, v35, 1.0
	s_delay_alu instid0(VALU_DEP_3) | instskip(NEXT) | instid1(VALU_DEP_3)
	v_dual_fma_f32 v4, -v4, v21, v42 :: v_dual_mul_f32 v42, v34, v30
	v_fmac_f32_e32 v32, v27, v31
	s_delay_alu instid0(VALU_DEP_3) | instskip(SKIP_1) | instid1(VALU_DEP_4)
	v_dual_fma_f32 v27, -v26, v36, v28 :: v_dual_fmac_f32 v35, v37, v35
	v_div_scale_f32 v37, s4, v12, v3, v12
	v_div_fmas_f32 v2, v4, v2, v21
	s_delay_alu instid0(VALU_DEP_3) | instskip(SKIP_3) | instid1(VALU_DEP_3)
	v_dual_fma_f32 v4, -v20, v32, v22 :: v_dual_fmac_f32 v36, v27, v23
	s_mov_b32 vcc_lo, s2
	v_fma_f32 v20, -v25, v42, v34
	v_mul_f32_e32 v22, v37, v35
	v_div_fmas_f32 v27, v4, v31, v32
	v_fma_f32 v4, -v26, v36, v28
	s_mov_b32 vcc_lo, s0
	v_dual_fmac_f32 v42, v20, v30 :: v_dual_mov_b32 v20, v5
	v_fma_f32 v21, -v33, v22, v37
	s_delay_alu instid0(VALU_DEP_3) | instskip(SKIP_1) | instid1(VALU_DEP_3)
	v_div_fmas_f32 v4, v4, v23, v36
	s_mov_b32 vcc_lo, s3
	v_fma_f32 v5, -v25, v42, v34
	s_delay_alu instid0(VALU_DEP_2) | instskip(SKIP_2) | instid1(VALU_DEP_4)
	v_div_fixup_f32 v4, v4, v17, v16
	v_fmac_f32_e32 v22, v21, v35
	v_div_fixup_f32 v21, v10, v11, v41
	v_div_fmas_f32 v5, v5, v30, v42
	s_mov_b32 vcc_lo, s4
	s_delay_alu instid0(VALU_DEP_3) | instskip(NEXT) | instid1(VALU_DEP_2)
	v_dual_add_f32 v16, v40, v4 :: v_dual_fma_f32 v10, -v33, v22, v37
	v_div_fixup_f32 v13, v5, v11, v13
	v_pk_add_f32 v[4:5], v[38:39], v[20:21]
	v_div_fixup_f32 v11, v2, v3, v15
	s_delay_alu instid0(VALU_DEP_4) | instskip(SKIP_2) | instid1(VALU_DEP_3)
	v_div_fmas_f32 v17, v10, v35, v22
	v_cmp_lt_f32_e32 vcc_lo, v9, v19
	v_div_fixup_f32 v10, v27, v3, v14
	v_div_fixup_f32 v2, v17, v3, v12
	v_cndmask_b32_e32 v9, v9, v19, vcc_lo
	v_cmp_lt_f32_e32 vcc_lo, v18, v8
	v_add_f32_e32 v12, v13, v16
	v_div_fixup_f32 v13, v29, v3, v24
	v_pk_add_f32 v[14:15], v[10:11], v[4:5]
	s_delay_alu instid0(VALU_DEP_3) | instskip(NEXT) | instid1(VALU_DEP_3)
	v_dual_cndmask_b32 v8, v8, v18, vcc_lo :: v_dual_add_f32 v2, v2, v12
	v_add_f32_e32 v7, v7, v13
	s_delay_alu instid0(VALU_DEP_3) | instskip(NEXT) | instid1(VALU_DEP_3)
	v_mov_b64_e32 v[12:13], v[14:15]
	v_mov_b64_e32 v[10:11], v[2:3]
.LBB27_41:
	s_or_b32 exec_lo, exec_lo, s6
	s_wait_dscnt 0x0
	v_lshlrev_b32_e32 v20, 2, v1
	s_mov_b32 s6, exec_lo
	s_delay_alu instid0(VALU_DEP_1)
	v_or_b32_e32 v19, 64, v20
	ds_bpermute_b32 v17, v19, v3
	ds_bpermute_b32 v3, v19, v8
	;; [unrolled: 1-line block ×7, first 2 shown]
	v_add_nc_u32_e32 v14, 16, v1
	s_delay_alu instid0(VALU_DEP_1)
	v_cmpx_lt_u32_e64 v14, v6
	s_cbranch_execz .LBB27_43
; %bb.42:
	s_wait_dscnt 0x0
	v_dual_add_f32 v6, v10, v2 :: v_dual_mov_b32 v10, v17
	v_dual_mov_b32 v15, v4 :: v_dual_mov_b32 v24, v11
	v_dual_mov_b32 v25, v12 :: v_dual_mov_b32 v26, v5
	v_mov_b32_e32 v27, v17
	s_delay_alu instid0(VALU_DEP_4) | instskip(SKIP_3) | instid1(VALU_DEP_3)
	v_pk_mul_f32 v[22:23], v[10:11], v[10:11]
	v_mov_b32_e32 v10, v7
	v_dual_mul_f32 v2, v11, v5 :: v_dual_mov_b32 v31, 0x40400000
	v_dual_mov_b32 v14, v11 :: v_dual_mov_b32 v34, v17
	v_pk_add_f32 v[28:29], v[16:17], v[10:11] neg_lo:[0,1] neg_hi:[0,1]
	v_pk_add_f32 v[32:33], v[10:11], v[16:17]
	v_mov_b32_e32 v30, v11
	v_pk_fma_f32 v[24:25], v[24:25], v[26:27], v[2:3] op_sel_hi:[1,1,0] neg_lo:[1,0,0] neg_hi:[1,0,0]
	v_dual_mov_b32 v24, v17 :: v_dual_fma_f32 v2, -v11, v17, v23
	v_dual_mov_b32 v32, v28 :: v_dual_sub_f32 v16, v11, v17
	v_pk_add_f32 v[40:41], v[12:13], v[14:15]
	v_dual_mov_b32 v15, v23 :: v_dual_mov_b32 v35, v22
	s_delay_alu instid0(VALU_DEP_3) | instskip(SKIP_2) | instid1(VALU_DEP_4)
	v_pk_mul_f32 v[38:39], v[32:33], v[32:33]
	v_dual_add_f32 v2, v22, v2 :: v_dual_mov_b32 v40, v12
	v_mov_b64_e32 v[36:37], 0x40c0000040800000
	v_pk_mul_f32 v[12:13], v[12:13], v[34:35] op_sel:[1,0] op_sel_hi:[0,1]
	s_delay_alu instid0(VALU_DEP_4) | instskip(SKIP_1) | instid1(VALU_DEP_2)
	v_pk_mul_f32 v[26:27], v[32:33], v[38:39]
	v_dual_mul_f32 v19, v28, v17 :: v_dual_mov_b32 v32, v11
	v_dual_mov_b32 v39, v28 :: v_dual_mul_f32 v21, v11, v26
	s_delay_alu instid0(VALU_DEP_3) | instskip(SKIP_1) | instid1(VALU_DEP_4)
	v_pk_mul_f32 v[10:11], v[28:29], v[26:27]
	v_mov_b32_e32 v11, v33
	v_div_scale_f32 v29, null, v33, v33, v19
	s_delay_alu instid0(VALU_DEP_4) | instskip(SKIP_1) | instid1(VALU_DEP_4)
	v_mul_f32_e32 v21, v21, v17
	v_pk_mul_f32 v[22:23], v[30:31], v[38:39]
	v_pk_mul_f32 v[10:11], v[32:33], v[10:11]
	v_mov_b32_e32 v32, v17
	v_pk_fma_f32 v[26:27], v[14:15], v[4:5], v[12:13] neg_lo:[0,0,1] neg_hi:[0,0,1]
	v_mul_f32_e32 v16, v16, v21
	v_rcp_f32_e32 v21, v29
	v_pk_fma_f32 v[12:13], v[14:15], v[4:5], v[12:13]
	v_div_scale_f32 v31, vcc_lo, v19, v33, v19
	s_delay_alu instid0(VALU_DEP_3) | instskip(SKIP_1) | instid1(TRANS32_DEP_1)
	v_div_scale_f32 v30, null, v11, v11, v16
	v_pk_mul_f32 v[22:23], v[22:23], v[24:25]
	v_fma_f32 v27, -v29, v21, 1.0
	v_div_scale_f32 v25, s0, v16, v11, v16
	s_delay_alu instid0(VALU_DEP_4) | instskip(NEXT) | instid1(VALU_DEP_3)
	v_rcp_f32_e32 v34, v30
	v_div_scale_f32 v4, null, v33, v33, v23
	s_delay_alu instid0(VALU_DEP_3) | instskip(SKIP_2) | instid1(TRANS32_DEP_1)
	v_fmac_f32_e32 v21, v27, v21
	v_pk_mul_f32 v[14:15], v[10:11], v[32:33]
	v_div_scale_f32 v17, null, v33, v33, v22
	v_fma_f32 v12, -v30, v34, 1.0
	v_rcp_f32_e32 v10, v4
	v_div_scale_f32 v39, s1, v23, v33, v23
	s_delay_alu instid0(VALU_DEP_3) | instskip(NEXT) | instid1(VALU_DEP_2)
	v_rcp_f32_e32 v32, v17
	v_dual_fmac_f32 v34, v12, v34 :: v_dual_mul_f32 v24, v31, v21
	s_delay_alu instid0(VALU_DEP_1) | instskip(NEXT) | instid1(VALU_DEP_1)
	v_mul_f32_e32 v35, v25, v34
	v_dual_fma_f32 v12, -v29, v24, v31 :: v_dual_fma_f32 v27, -v30, v35, v25
	s_delay_alu instid0(VALU_DEP_1)
	v_fmac_f32_e32 v24, v12, v21
	v_fma_f32 v12, -v4, v10, 1.0
	v_mul_f32_e32 v2, v2, v14
	v_fma_f32 v14, -v17, v32, 1.0
	v_fmac_f32_e32 v35, v27, v34
	v_dual_fma_f32 v31, -v29, v24, v31 :: v_dual_mov_b32 v29, v38
	v_dual_fmac_f32 v10, v12, v10 :: v_dual_mov_b32 v27, v13
	s_delay_alu instid0(VALU_DEP_2) | instskip(NEXT) | instid1(VALU_DEP_3)
	v_div_fmas_f32 v21, v31, v21, v24
	v_pk_mul_f32 v[12:13], v[28:29], v[36:37]
	v_div_scale_f32 v28, null, v15, v15, v2
	s_delay_alu instid0(VALU_DEP_4) | instskip(NEXT) | instid1(VALU_DEP_3)
	v_dual_fma_f32 v24, -v30, v35, v25 :: v_dual_mul_f32 v25, v39, v10
	v_pk_mul_f32 v[12:13], v[12:13], v[26:27]
	s_delay_alu instid0(VALU_DEP_3) | instskip(SKIP_1) | instid1(VALU_DEP_2)
	v_rcp_f32_e32 v26, v28
	s_mov_b32 vcc_lo, s0
	v_dual_fmac_f32 v32, v14, v32 :: v_dual_fma_f32 v29, -v4, v25, v39
	s_delay_alu instid0(VALU_DEP_2) | instskip(SKIP_2) | instid1(VALU_DEP_3)
	v_div_scale_f32 v27, null, v11, v11, v13
	v_div_fmas_f32 v24, v24, v34, v35
	v_div_scale_f32 v35, null, v33, v33, v12
	v_rcp_f32_e32 v31, v27
	v_div_scale_f32 v14, s2, v22, v33, v22
	v_fma_f32 v30, -v28, v26, 1.0
	s_delay_alu instid0(VALU_DEP_3) | instskip(NEXT) | instid1(VALU_DEP_2)
	v_rcp_f32_e32 v37, v35
	v_dual_fmac_f32 v25, v29, v10 :: v_dual_mul_f32 v34, v14, v32
	s_delay_alu instid0(TRANS32_DEP_2) | instskip(NEXT) | instid1(VALU_DEP_3)
	v_fma_f32 v36, -v27, v31, 1.0
	v_fmac_f32_e32 v26, v30, v26
	v_div_scale_f32 v30, s0, v2, v15, v2
	s_delay_alu instid0(VALU_DEP_4) | instskip(NEXT) | instid1(VALU_DEP_2)
	v_dual_fma_f32 v29, -v17, v34, v14 :: v_dual_fma_f32 v4, -v4, v25, v39
	v_dual_fmac_f32 v31, v36, v31 :: v_dual_mul_f32 v38, v30, v26
	v_div_scale_f32 v36, s3, v13, v11, v13
	v_fma_f32 v42, -v35, v37, 1.0
	s_delay_alu instid0(VALU_DEP_4) | instskip(NEXT) | instid1(VALU_DEP_4)
	v_fmac_f32_e32 v34, v29, v32
	v_fma_f32 v29, -v28, v38, v30
	s_delay_alu instid0(VALU_DEP_4)
	v_mul_f32_e32 v39, v36, v31
	s_mov_b32 vcc_lo, s1
	v_fmac_f32_e32 v37, v42, v37
	v_div_scale_f32 v42, s4, v12, v33, v12
	v_div_fmas_f32 v10, v4, v10, v25
	v_fma_f32 v4, -v17, v34, v14
	v_dual_fmac_f32 v38, v29, v26 :: v_dual_fma_f32 v14, -v27, v39, v36
	s_delay_alu instid0(VALU_DEP_4) | instskip(SKIP_1) | instid1(VALU_DEP_3)
	v_mul_f32_e32 v25, v42, v37
	s_mov_b32 vcc_lo, s2
	v_div_fmas_f32 v29, v4, v32, v34
	s_delay_alu instid0(VALU_DEP_3) | instskip(NEXT) | instid1(VALU_DEP_3)
	v_fma_f32 v4, -v28, v38, v30
	v_dual_fma_f32 v17, -v35, v25, v42 :: v_dual_fmac_f32 v39, v14, v31
	s_mov_b32 vcc_lo, s0
	v_div_fixup_f32 v14, v21, v33, v19
	s_delay_alu instid0(VALU_DEP_3) | instskip(NEXT) | instid1(VALU_DEP_3)
	v_div_fmas_f32 v4, v4, v26, v38
	v_fmac_f32_e32 v25, v17, v37
	v_div_fixup_f32 v17, v24, v11, v16
	v_dual_mov_b32 v16, v5 :: v_dual_fma_f32 v5, -v27, v39, v36
	s_delay_alu instid0(VALU_DEP_4) | instskip(NEXT) | instid1(VALU_DEP_4)
	v_div_fixup_f32 v2, v4, v15, v2
	v_fma_f32 v4, -v35, v25, v42
	s_mov_b32 vcc_lo, s3
	v_add_f32_e32 v7, v7, v14
	v_div_fmas_f32 v5, v5, v31, v39
	s_mov_b32 vcc_lo, s4
	v_add_f32_e32 v2, v6, v2
	v_div_fmas_f32 v6, v4, v37, v25
	v_cmp_lt_f32_e32 vcc_lo, v9, v18
	v_div_fixup_f32 v13, v5, v11, v13
	v_pk_add_f32 v[4:5], v[40:41], v[16:17]
	v_div_fixup_f32 v11, v10, v33, v23
	v_div_fixup_f32 v6, v6, v33, v12
	v_cndmask_b32_e32 v9, v9, v18, vcc_lo
	v_cmp_lt_f32_e32 vcc_lo, v3, v8
	v_div_fixup_f32 v10, v29, v33, v22
	v_dual_cndmask_b32 v8, v8, v3, vcc_lo :: v_dual_add_f32 v2, v13, v2
	s_delay_alu instid0(VALU_DEP_2) | instskip(NEXT) | instid1(VALU_DEP_2)
	v_pk_add_f32 v[12:13], v[10:11], v[4:5]
	v_add_f32_e32 v32, v6, v2
	s_delay_alu instid0(VALU_DEP_1)
	v_mov_b64_e32 v[10:11], v[32:33]
.LBB27_43:
	s_or_b32 exec_lo, exec_lo, s6
	s_delay_alu instid0(SALU_CYCLE_1)
	s_mov_b32 s0, exec_lo
	v_cmpx_eq_u32_e32 0, v1
	s_cbranch_execz .LBB27_45
; %bb.44:
	s_wait_dscnt 0x0
	v_lshrrev_b32_e32 v2, 5, v0
	s_delay_alu instid0(VALU_DEP_1)
	v_mul_u32_u24_e32 v2, 28, v2
	ds_store_2addr_b32 v2, v11, v8 offset1:1
	ds_store_2addr_b32 v2, v9, v7 offset0:2 offset1:3
	ds_store_2addr_b32 v2, v12, v13 offset0:4 offset1:5
	ds_store_b32 v2, v10 offset:24
.LBB27_45:
	s_or_b32 exec_lo, exec_lo, s0
	s_delay_alu instid0(SALU_CYCLE_1)
	s_mov_b32 s6, exec_lo
	s_wait_dscnt 0x0
	s_barrier_signal -1
	s_barrier_wait -1
	v_cmpx_gt_u32_e32 8, v0
	s_cbranch_execz .LBB27_53
; %bb.46:
	v_mul_u32_u24_e32 v2, 28, v1
	v_and_b32_e32 v21, 7, v1
	s_add_co_i32 s5, s5, 31
	ds_load_2addr_b32 v[6:7], v2 offset1:3
	ds_load_2addr_b32 v[8:9], v2 offset0:1 offset1:2
	ds_load_2addr_b32 v[12:13], v2 offset0:4 offset1:5
	ds_load_b32 v10, v2 offset:24
	v_cmp_ne_u32_e32 vcc_lo, 7, v21
	s_lshr_b32 s5, s5, 5
	v_add_co_ci_u32_e64 v2, null, 0, v1, vcc_lo
	s_delay_alu instid0(VALU_DEP_1)
	v_lshlrev_b32_e32 v2, 2, v2
	s_wait_dscnt 0x3
	ds_bpermute_b32 v15, v2, v6
	s_wait_dscnt 0x3
	ds_bpermute_b32 v22, v2, v8
	ds_bpermute_b32 v23, v2, v9
	;; [unrolled: 1-line block ×3, first 2 shown]
	s_wait_dscnt 0x5
	ds_bpermute_b32 v5, v2, v12
	ds_bpermute_b32 v4, v2, v13
	s_wait_dscnt 0x6
	ds_bpermute_b32 v24, v2, v10
	v_dual_mov_b32 v11, v6 :: v_dual_add_nc_u32 v2, 1, v21
	v_mov_b64_e32 v[16:17], v[6:7]
	v_dual_mov_b32 v19, v13 :: v_dual_mov_b32 v18, v12
	s_delay_alu instid0(VALU_DEP_3) | instskip(NEXT) | instid1(VALU_DEP_4)
	v_cmp_gt_u32_e32 vcc_lo, s5, v2
	v_mov_b64_e32 v[2:3], v[10:11]
	s_and_saveexec_b32 s7, vcc_lo
	s_cbranch_execz .LBB27_48
; %bb.47:
	v_dual_mov_b32 v2, v7 :: v_dual_mov_b32 v3, v6
	s_wait_dscnt 0x0
	v_dual_add_f32 v38, v10, v24 :: v_dual_mov_b32 v27, v12
	v_dual_mov_b32 v17, v4 :: v_dual_sub_f32 v35, v6, v15
	s_delay_alu instid0(VALU_DEP_3) | instskip(SKIP_2) | instid1(VALU_DEP_3)
	v_pk_add_f32 v[18:19], v[14:15], v[2:3] neg_lo:[0,1] neg_hi:[0,1]
	v_pk_add_f32 v[10:11], v[2:3], v[14:15]
	v_dual_mov_b32 v26, v6 :: v_dual_mov_b32 v2, v5
	v_dual_mov_b32 v3, v15 :: v_dual_mov_b32 v10, v18
	v_dual_mul_f32 v39, v18, v15 :: v_dual_mov_b32 v16, v15
	v_dual_mul_f32 v14, v6, v5 :: v_dual_mov_b32 v29, 0x40400000
	s_delay_alu instid0(VALU_DEP_3) | instskip(NEXT) | instid1(VALU_DEP_3)
	v_pk_mul_f32 v[24:25], v[10:11], v[10:11]
	v_div_scale_f32 v41, null, v11, v11, v39
	s_delay_alu instid0(VALU_DEP_4) | instskip(SKIP_1) | instid1(VALU_DEP_4)
	v_pk_add_f32 v[36:37], v[12:13], v[16:17]
	v_dual_mov_b32 v32, v15 :: v_dual_mov_b32 v33, v6
	v_pk_mul_f32 v[30:31], v[10:11], v[24:25]
	s_delay_alu instid0(VALU_DEP_4) | instskip(SKIP_1) | instid1(VALU_DEP_2)
	v_rcp_f32_e32 v42, v41
	v_dual_mov_b32 v28, v6 :: v_dual_mul_f32 v40, v6, v6
	v_dual_mov_b32 v10, v6 :: v_dual_mul_f32 v25, v6, v30
	s_delay_alu instid0(VALU_DEP_3) | instskip(SKIP_1) | instid1(TRANS32_DEP_1)
	v_pk_mul_f32 v[30:31], v[18:19], v[30:31]
	v_mov_b32_e32 v31, v11
	v_fma_f32 v17, -v41, v42, 1.0
	s_delay_alu instid0(VALU_DEP_4) | instskip(SKIP_1) | instid1(VALU_DEP_4)
	v_dual_mov_b32 v34, v15 :: v_dual_mul_f32 v19, v25, v15
	v_pk_fma_f32 v[2:3], v[26:27], v[2:3], v[14:15] op_sel_hi:[1,1,0] neg_lo:[1,0,0] neg_hi:[1,0,0]
	v_pk_mul_f32 v[30:31], v[10:11], v[30:31]
	v_div_scale_f32 v10, vcc_lo, v39, v11, v39
	s_delay_alu instid0(VALU_DEP_4) | instskip(SKIP_3) | instid1(VALU_DEP_4)
	v_dual_mul_f32 v43, v35, v19 :: v_dual_mov_b32 v25, v18
	v_fmac_f32_e32 v42, v17, v42
	v_pk_mul_f32 v[16:17], v[32:33], v[16:17] op_sel_hi:[1,0]
	v_mov_b32_e32 v36, v12
	v_div_scale_f32 v19, null, v31, v31, v43
	s_delay_alu instid0(VALU_DEP_4) | instskip(SKIP_1) | instid1(VALU_DEP_3)
	v_dual_mul_f32 v14, v10, v42 :: v_dual_mov_b32 v2, v15
	v_pk_mul_f32 v[26:27], v[28:29], v[24:25]
	v_rcp_f32_e32 v32, v19
	v_dual_fma_f32 v17, v6, v6, -v17 :: v_dual_mov_b32 v35, v16
	s_delay_alu instid0(VALU_DEP_3) | instskip(NEXT) | instid1(VALU_DEP_3)
	v_fma_f32 v25, -v41, v14, v10
	v_pk_mul_f32 v[2:3], v[26:27], v[2:3]
	s_delay_alu instid0(TRANS32_DEP_1) | instskip(NEXT) | instid1(VALU_DEP_3)
	v_fma_f32 v28, -v19, v32, 1.0
	v_fmac_f32_e32 v14, v25, v42
	v_div_scale_f32 v25, s0, v43, v31, v43
	s_delay_alu instid0(VALU_DEP_4) | instskip(NEXT) | instid1(VALU_DEP_4)
	v_div_scale_f32 v33, null, v11, v11, v3
	v_fmac_f32_e32 v32, v28, v32
	s_delay_alu instid0(VALU_DEP_4) | instskip(SKIP_1) | instid1(VALU_DEP_4)
	v_dual_add_f32 v16, v16, v17 :: v_dual_fma_f32 v10, -v41, v14, v10
	v_pk_mul_f32 v[12:13], v[12:13], v[34:35] op_sel:[1,0] op_sel_hi:[0,1]
	v_rcp_f32_e32 v34, v33
	s_delay_alu instid0(VALU_DEP_3)
	v_mul_f32_e32 v41, v25, v32
	v_mov_b64_e32 v[28:29], 0x40c0000040800000
	v_div_fmas_f32 v14, v10, v42, v14
	v_mov_b32_e32 v10, v15
	v_div_scale_f32 v35, null, v11, v11, v2
	v_fma_f32 v17, -v19, v41, v25
	s_delay_alu instid0(VALU_DEP_4) | instskip(NEXT) | instid1(VALU_DEP_4)
	v_div_fixup_f32 v26, v14, v11, v39
	v_pk_mul_f32 v[14:15], v[30:31], v[10:11]
	v_fma_f32 v10, -v33, v34, 1.0
	s_mov_b32 vcc_lo, s0
	s_delay_alu instid0(VALU_DEP_3) | instskip(SKIP_2) | instid1(VALU_DEP_3)
	v_dual_fmac_f32 v41, v17, v32 :: v_dual_add_f32 v17, v7, v26
	v_mov_b32_e32 v7, v40
	v_mul_f32_e32 v14, v16, v14
	v_dual_fmac_f32 v34, v10, v34 :: v_dual_fma_f32 v16, -v19, v41, v25
	v_mov_b32_e32 v19, v24
	s_delay_alu instid0(VALU_DEP_4) | instskip(SKIP_2) | instid1(VALU_DEP_4)
	v_pk_fma_f32 v[26:27], v[6:7], v[4:5], v[12:13]
	v_pk_fma_f32 v[6:7], v[6:7], v[4:5], v[12:13] neg_lo:[0,0,1] neg_hi:[0,0,1]
	v_div_scale_f32 v10, s1, v3, v11, v3
	v_pk_mul_f32 v[12:13], v[18:19], v[28:29]
	s_delay_alu instid0(VALU_DEP_4) | instskip(SKIP_1) | instid1(VALU_DEP_3)
	v_mov_b32_e32 v7, v27
	v_rcp_f32_e32 v25, v35
	v_mul_f32_e32 v4, v10, v34
	v_div_scale_f32 v18, null, v15, v15, v14
	s_delay_alu instid0(VALU_DEP_3) | instskip(SKIP_1) | instid1(VALU_DEP_3)
	v_pk_mul_f32 v[6:7], v[12:13], v[6:7]
	v_div_scale_f32 v12, s2, v2, v11, v2
	v_rcp_f32_e32 v13, v18
	s_delay_alu instid0(TRANS32_DEP_2) | instskip(NEXT) | instid1(VALU_DEP_3)
	v_fma_f32 v24, -v35, v25, 1.0
	v_div_scale_f32 v19, null, v31, v31, v7
	v_div_scale_f32 v29, null, v11, v11, v6
	s_delay_alu instid0(VALU_DEP_3) | instskip(NEXT) | instid1(VALU_DEP_3)
	v_dual_fmac_f32 v25, v24, v25 :: v_dual_fma_f32 v24, -v33, v4, v10
	v_rcp_f32_e32 v27, v19
	s_delay_alu instid0(TRANS32_DEP_2)
	v_fma_f32 v26, -v18, v13, 1.0
	v_div_fmas_f32 v16, v16, v32, v41
	v_rcp_f32_e32 v32, v29
	v_fmac_f32_e32 v4, v24, v34
	s_mov_b32 vcc_lo, s1
	v_fmac_f32_e32 v13, v26, v13
	v_div_scale_f32 v26, s0, v14, v15, v14
	v_fma_f32 v30, -v19, v27, 1.0
	v_mul_f32_e32 v28, v12, v25
	v_fma_f32 v40, -v29, v32, 1.0
	s_delay_alu instid0(VALU_DEP_4) | instskip(NEXT) | instid1(VALU_DEP_3)
	v_mul_f32_e32 v39, v26, v13
	v_dual_fmac_f32 v27, v30, v27 :: v_dual_fma_f32 v24, -v35, v28, v12
	v_div_scale_f32 v30, s3, v7, v31, v7
	v_fma_f32 v10, -v33, v4, v10
	v_fmac_f32_e32 v32, v40, v32
	s_delay_alu instid0(VALU_DEP_4) | instskip(NEXT) | instid1(VALU_DEP_4)
	v_dual_fmac_f32 v28, v24, v25 :: v_dual_fma_f32 v24, -v18, v39, v26
	v_mul_f32_e32 v33, v30, v27
	v_div_scale_f32 v40, s4, v6, v11, v6
	v_div_fmas_f32 v10, v10, v34, v4
	s_delay_alu instid0(VALU_DEP_4) | instskip(NEXT) | instid1(VALU_DEP_3)
	v_dual_fma_f32 v4, -v35, v28, v12 :: v_dual_fmac_f32 v39, v24, v13
	v_dual_fma_f32 v12, -v19, v33, v30 :: v_dual_mul_f32 v24, v40, v32
	s_mov_b32 vcc_lo, s2
	s_delay_alu instid0(VALU_DEP_3) | instskip(NEXT) | instid1(VALU_DEP_3)
	v_div_fixup_f32 v3, v10, v11, v3
	v_div_fmas_f32 v25, v4, v25, v28
	s_delay_alu instid0(VALU_DEP_3) | instskip(SKIP_2) | instid1(VALU_DEP_3)
	v_dual_fma_f32 v4, -v18, v39, v26 :: v_dual_fma_f32 v18, -v29, v24, v40
	v_dual_fmac_f32 v33, v12, v27 :: v_dual_mov_b32 v12, v5
	s_mov_b32 vcc_lo, s0
	v_div_fixup_f32 v2, v25, v11, v2
	s_delay_alu instid0(VALU_DEP_3) | instskip(SKIP_4) | instid1(VALU_DEP_3)
	v_fmac_f32_e32 v24, v18, v32
	v_div_fmas_f32 v4, v4, v13, v39
	v_fma_f32 v5, -v19, v33, v30
	s_mov_b32 vcc_lo, s3
	v_div_fixup_f32 v13, v16, v31, v43
	v_div_fixup_f32 v4, v4, v15, v14
	v_fma_f32 v14, -v29, v24, v40
	v_div_fmas_f32 v5, v5, v27, v33
	s_mov_b32 vcc_lo, s4
	s_delay_alu instid0(VALU_DEP_2) | instskip(NEXT) | instid1(VALU_DEP_2)
	v_div_fmas_f32 v14, v14, v32, v24
	v_div_fixup_f32 v7, v5, v31, v7
	v_cmp_lt_f32_e32 vcc_lo, v9, v23
	v_add_f32_e32 v15, v38, v4
	v_pk_add_f32 v[4:5], v[36:37], v[12:13]
	v_div_fixup_f32 v6, v14, v11, v6
	v_cndmask_b32_e32 v9, v9, v23, vcc_lo
	v_cmp_lt_f32_e32 vcc_lo, v22, v8
	v_add_f32_e32 v7, v7, v15
	v_pk_add_f32 v[18:19], v[2:3], v[4:5]
	s_delay_alu instid0(VALU_DEP_2) | instskip(SKIP_1) | instid1(VALU_DEP_3)
	v_dual_cndmask_b32 v8, v8, v22, vcc_lo :: v_dual_add_f32 v10, v6, v7
	v_mov_b32_e32 v7, v17
	v_mov_b64_e32 v[12:13], v[18:19]
	v_mov_b32_e32 v6, v11
	s_delay_alu instid0(VALU_DEP_4)
	v_mov_b64_e32 v[2:3], v[10:11]
.LBB27_48:
	s_or_b32 exec_lo, exec_lo, s7
	v_cmp_gt_u32_e32 vcc_lo, 6, v21
	s_wait_dscnt 0x5
	v_add_nc_u32_e32 v22, 2, v21
	s_mov_b32 s7, exec_lo
	v_cndmask_b32_e64 v3, 0, 2, vcc_lo
	s_delay_alu instid0(VALU_DEP_1)
	v_add_lshl_u32 v3, v3, v1, 2
	ds_bpermute_b32 v15, v3, v6
	ds_bpermute_b32 v1, v3, v8
	;; [unrolled: 1-line block ×3, first 2 shown]
	s_wait_dscnt 0x6
	ds_bpermute_b32 v14, v3, v17
	s_wait_dscnt 0x6
	ds_bpermute_b32 v5, v3, v18
	;; [unrolled: 2-line block ×3, first 2 shown]
	ds_bpermute_b32 v3, v3, v2
	v_cmpx_gt_u32_e64 s5, v22
	s_cbranch_execz .LBB27_50
; %bb.49:
	s_wait_dscnt 0x0
	v_dual_add_f32 v38, v10, v3 :: v_dual_mov_b32 v10, v15
	v_dual_mov_b32 v22, v11 :: v_dual_mov_b32 v23, v12
	v_dual_mov_b32 v24, v5 :: v_dual_mov_b32 v25, v15
	s_delay_alu instid0(VALU_DEP_3) | instskip(SKIP_3) | instid1(VALU_DEP_3)
	v_pk_mul_f32 v[18:19], v[10:11], v[10:11]
	v_dual_mov_b32 v10, v7 :: v_dual_mov_b32 v17, v4
	v_dual_mul_f32 v6, v11, v5 :: v_dual_mov_b32 v29, 0x40400000
	v_mov_b32_e32 v30, v11
	v_pk_add_f32 v[26:27], v[14:15], v[10:11] neg_lo:[0,1] neg_hi:[0,1]
	v_pk_add_f32 v[2:3], v[10:11], v[14:15]
	s_delay_alu instid0(VALU_DEP_4) | instskip(SKIP_1) | instid1(VALU_DEP_4)
	v_pk_fma_f32 v[22:23], v[22:23], v[24:25], v[6:7] op_sel_hi:[1,1,0] neg_lo:[1,0,0] neg_hi:[1,0,0]
	v_pk_add_f32 v[36:37], v[12:13], v[16:17]
	v_dual_mov_b32 v22, v15 :: v_dual_mul_f32 v17, v26, v15
	v_dual_mov_b32 v2, v26 :: v_dual_mov_b32 v28, v11
	v_dual_sub_f32 v14, v11, v15 :: v_dual_fma_f32 v6, -v11, v15, v19
	v_mov_b32_e32 v33, v18
	s_delay_alu instid0(VALU_DEP_3) | instskip(SKIP_3) | instid1(VALU_DEP_4)
	v_pk_mul_f32 v[34:35], v[2:3], v[2:3]
	v_div_scale_f32 v39, null, v3, v3, v17
	v_dual_mov_b32 v31, v19 :: v_dual_mov_b32 v32, v15
	v_mov_b32_e32 v36, v12
	v_pk_mul_f32 v[24:25], v[2:3], v[34:35]
	s_delay_alu instid0(VALU_DEP_4) | instskip(SKIP_1) | instid1(VALU_DEP_2)
	v_rcp_f32_e32 v40, v39
	v_dual_mov_b32 v2, v11 :: v_dual_mov_b32 v35, v26
	v_dual_add_f32 v6, v18, v6 :: v_dual_mul_f32 v19, v11, v24
	s_delay_alu instid0(VALU_DEP_3) | instskip(SKIP_3) | instid1(VALU_DEP_3)
	v_pk_mul_f32 v[10:11], v[26:27], v[24:25]
	v_mov_b32_e32 v11, v3
	v_pk_mul_f32 v[12:13], v[12:13], v[32:33] op_sel:[1,0] op_sel_hi:[0,1]
	v_div_scale_f32 v27, vcc_lo, v17, v3, v17
	v_pk_mul_f32 v[10:11], v[2:3], v[10:11]
	v_fma_f32 v2, -v39, v40, 1.0
	v_mul_f32_e32 v19, v19, v15
	v_pk_fma_f32 v[24:25], v[30:31], v[4:5], v[12:13] neg_lo:[0,0,1] neg_hi:[0,0,1]
	v_pk_fma_f32 v[12:13], v[30:31], v[4:5], v[12:13]
	s_delay_alu instid0(VALU_DEP_4) | instskip(NEXT) | instid1(VALU_DEP_4)
	v_fmac_f32_e32 v40, v2, v40
	v_dual_mul_f32 v41, v14, v19 :: v_dual_mov_b32 v2, v15
	v_pk_mul_f32 v[18:19], v[28:29], v[34:35]
	s_delay_alu instid0(VALU_DEP_2) | instskip(NEXT) | instid1(VALU_DEP_2)
	v_div_scale_f32 v28, null, v11, v11, v41
	v_pk_mul_f32 v[18:19], v[18:19], v[22:23]
	v_div_scale_f32 v25, s0, v41, v11, v41
	s_delay_alu instid0(VALU_DEP_3) | instskip(SKIP_1) | instid1(VALU_DEP_3)
	v_rcp_f32_e32 v29, v28
	v_mov_b64_e32 v[22:23], 0x40c0000040800000
	v_div_scale_f32 v4, null, v3, v3, v19
	v_div_scale_f32 v30, null, v3, v3, v18
	v_div_scale_f32 v32, s1, v19, v3, v19
	s_delay_alu instid0(TRANS32_DEP_1) | instskip(SKIP_2) | instid1(VALU_DEP_1)
	v_fma_f32 v14, -v28, v29, 1.0
	v_mul_f32_e32 v12, v27, v40
	v_rcp_f32_e32 v31, v4
	v_dual_fmac_f32 v29, v14, v29 :: v_dual_fma_f32 v15, -v39, v12, v27
	s_delay_alu instid0(VALU_DEP_1) | instskip(SKIP_1) | instid1(TRANS32_DEP_1)
	v_dual_mul_f32 v33, v25, v29 :: v_dual_fmac_f32 v12, v15, v40
	v_pk_mul_f32 v[14:15], v[10:11], v[2:3]
	v_fma_f32 v10, -v4, v31, 1.0
	v_rcp_f32_e32 v2, v30
	s_delay_alu instid0(VALU_DEP_3) | instskip(NEXT) | instid1(VALU_DEP_3)
	v_dual_fma_f32 v35, -v39, v12, v27 :: v_dual_mov_b32 v27, v34
	v_dual_fma_f32 v39, -v28, v33, v25 :: v_dual_mul_f32 v6, v6, v14
	s_delay_alu instid0(VALU_DEP_2) | instskip(NEXT) | instid1(TRANS32_DEP_1)
	v_div_fmas_f32 v12, v35, v40, v12
	v_fma_f32 v14, -v30, v2, 1.0
	s_delay_alu instid0(VALU_DEP_3) | instskip(SKIP_1) | instid1(VALU_DEP_3)
	v_dual_fmac_f32 v33, v39, v29 :: v_dual_fmac_f32 v31, v10, v31
	s_mov_b32 vcc_lo, s0
	v_div_fixup_f32 v17, v12, v3, v17
	s_delay_alu instid0(VALU_DEP_2) | instskip(SKIP_3) | instid1(VALU_DEP_4)
	v_dual_fma_f32 v10, -v28, v33, v25 :: v_dual_mov_b32 v25, v13
	v_pk_mul_f32 v[12:13], v[26:27], v[22:23]
	v_div_scale_f32 v23, null, v15, v15, v6
	v_mul_f32_e32 v22, v32, v31
	v_div_fmas_f32 v10, v10, v29, v33
	s_delay_alu instid0(VALU_DEP_4) | instskip(NEXT) | instid1(VALU_DEP_4)
	v_pk_mul_f32 v[12:13], v[12:13], v[24:25]
	v_rcp_f32_e32 v24, v23
	s_mov_b32 vcc_lo, s1
	v_add_f32_e32 v17, v7, v17
	s_delay_alu instid0(VALU_DEP_2) | instskip(SKIP_1) | instid1(TRANS32_DEP_1)
	v_div_scale_f32 v25, null, v11, v11, v13
	v_div_scale_f32 v33, null, v3, v3, v12
	v_fma_f32 v27, -v23, v24, 1.0
	v_fmac_f32_e32 v2, v14, v2
	v_div_scale_f32 v14, s2, v18, v3, v18
	v_rcp_f32_e32 v28, v25
	s_delay_alu instid0(VALU_DEP_3) | instskip(SKIP_3) | instid1(VALU_DEP_2)
	v_fmac_f32_e32 v24, v27, v24
	v_div_scale_f32 v27, s0, v6, v15, v6
	v_rcp_f32_e32 v35, v33
	v_dual_fma_f32 v26, -v4, v22, v32 :: v_dual_mov_b32 v7, v17
	v_dual_mul_f32 v39, v27, v24 :: v_dual_mul_f32 v29, v14, v2
	s_delay_alu instid0(TRANS32_DEP_2) | instskip(NEXT) | instid1(VALU_DEP_3)
	v_fma_f32 v34, -v25, v28, 1.0
	v_fmac_f32_e32 v22, v26, v31
	s_delay_alu instid0(TRANS32_DEP_1) | instskip(NEXT) | instid1(VALU_DEP_4)
	v_fma_f32 v40, -v33, v35, 1.0
	v_fma_f32 v26, -v30, v29, v14
	s_delay_alu instid0(VALU_DEP_4) | instskip(SKIP_1) | instid1(VALU_DEP_3)
	v_fmac_f32_e32 v28, v34, v28
	v_div_scale_f32 v34, s3, v13, v11, v13
	v_dual_fmac_f32 v35, v40, v35 :: v_dual_fmac_f32 v29, v26, v2
	v_fma_f32 v26, -v23, v39, v27
	v_div_scale_f32 v40, s4, v12, v3, v12
	s_delay_alu instid0(VALU_DEP_4) | instskip(NEXT) | instid1(VALU_DEP_2)
	v_dual_fma_f32 v4, -v4, v22, v32 :: v_dual_mul_f32 v32, v34, v28
	v_dual_fmac_f32 v39, v26, v24 :: v_dual_mul_f32 v26, v40, v35
	s_delay_alu instid0(VALU_DEP_2) | instskip(SKIP_2) | instid1(VALU_DEP_3)
	v_div_fmas_f32 v31, v4, v31, v22
	v_fma_f32 v4, -v30, v29, v14
	s_mov_b32 vcc_lo, s2
	v_fma_f32 v22, -v33, v26, v40
	s_delay_alu instid0(VALU_DEP_2) | instskip(SKIP_1) | instid1(VALU_DEP_2)
	v_div_fmas_f32 v2, v4, v2, v29
	s_mov_b32 vcc_lo, s0
	v_dual_fmac_f32 v26, v22, v35 :: v_dual_mov_b32 v22, v5
	v_dual_fma_f32 v14, -v25, v32, v34 :: v_dual_fma_f32 v4, -v23, v39, v27
	v_div_fixup_f32 v23, v10, v11, v41
	v_div_fixup_f32 v10, v2, v3, v18
	s_delay_alu instid0(VALU_DEP_3) | instskip(NEXT) | instid1(VALU_DEP_4)
	v_fmac_f32_e32 v32, v14, v28
	v_div_fmas_f32 v4, v4, v24, v39
	s_mov_b32 vcc_lo, s3
	s_delay_alu instid0(VALU_DEP_2) | instskip(NEXT) | instid1(VALU_DEP_2)
	v_fma_f32 v5, -v25, v32, v34
	v_div_fixup_f32 v4, v4, v15, v6
	v_fma_f32 v6, -v33, v26, v40
	s_delay_alu instid0(VALU_DEP_3) | instskip(SKIP_1) | instid1(VALU_DEP_3)
	v_div_fmas_f32 v5, v5, v28, v32
	s_mov_b32 vcc_lo, s4
	v_add_f32_e32 v14, v38, v4
	s_delay_alu instid0(VALU_DEP_3)
	v_div_fmas_f32 v6, v6, v35, v26
	v_cmp_lt_f32_e32 vcc_lo, v9, v16
	v_div_fixup_f32 v13, v5, v11, v13
	v_pk_add_f32 v[4:5], v[36:37], v[22:23]
	v_div_fixup_f32 v11, v31, v3, v19
	v_div_fixup_f32 v2, v6, v3, v12
	v_cndmask_b32_e32 v9, v9, v16, vcc_lo
	v_add_f32_e32 v6, v13, v14
	v_cmp_lt_f32_e32 vcc_lo, v1, v8
	v_pk_add_f32 v[18:19], v[10:11], v[4:5]
	s_delay_alu instid0(VALU_DEP_3) | instskip(NEXT) | instid1(VALU_DEP_2)
	v_dual_add_f32 v2, v2, v6 :: v_dual_cndmask_b32 v8, v8, v1, vcc_lo
	v_mov_b64_e32 v[12:13], v[18:19]
	v_mov_b32_e32 v6, v3
	s_delay_alu instid0(VALU_DEP_3)
	v_mov_b64_e32 v[10:11], v[2:3]
.LBB27_50:
	s_or_b32 exec_lo, exec_lo, s7
	s_wait_dscnt 0x4
	v_or_b32_e32 v16, 16, v20
	ds_bpermute_b32 v15, v16, v6
	v_add_nc_u32_e32 v6, 4, v21
	ds_bpermute_b32 v1, v16, v8
	s_wait_dscnt 0x2
	ds_bpermute_b32 v3, v16, v9
	ds_bpermute_b32 v14, v16, v17
	;; [unrolled: 1-line block ×5, first 2 shown]
	v_cmp_gt_u32_e32 vcc_lo, s5, v6
	s_and_saveexec_b32 s5, vcc_lo
	s_cbranch_execz .LBB27_52
; %bb.51:
	s_wait_dscnt 0x0
	v_dual_add_f32 v6, v10, v2 :: v_dual_mov_b32 v10, v15
	v_dual_mov_b32 v17, v4 :: v_dual_mov_b32 v20, v11
	v_dual_mov_b32 v21, v12 :: v_dual_mov_b32 v22, v5
	v_mov_b32_e32 v23, v15
	s_delay_alu instid0(VALU_DEP_4) | instskip(SKIP_2) | instid1(VALU_DEP_3)
	v_pk_mul_f32 v[18:19], v[10:11], v[10:11]
	v_mov_b32_e32 v10, v7
	v_dual_mul_f32 v2, v11, v5 :: v_dual_mov_b32 v27, 0x40400000
	v_dual_mov_b32 v16, v11 :: v_dual_mov_b32 v31, v18
	s_delay_alu instid0(VALU_DEP_3) | instskip(SKIP_3) | instid1(VALU_DEP_4)
	v_pk_add_f32 v[24:25], v[14:15], v[10:11] neg_lo:[0,1] neg_hi:[0,1]
	v_pk_add_f32 v[28:29], v[10:11], v[14:15]
	v_dual_mov_b32 v26, v11 :: v_dual_sub_f32 v14, v11, v15
	v_pk_fma_f32 v[20:21], v[20:21], v[22:23], v[2:3] op_sel_hi:[1,1,0] neg_lo:[1,0,0] neg_hi:[1,0,0]
	v_dual_mov_b32 v28, v24 :: v_dual_fma_f32 v2, -v11, v15, v19
	v_pk_add_f32 v[36:37], v[12:13], v[16:17]
	v_dual_mov_b32 v20, v15 :: v_dual_mov_b32 v17, v19
	s_delay_alu instid0(VALU_DEP_3) | instskip(NEXT) | instid1(VALU_DEP_4)
	v_pk_mul_f32 v[34:35], v[28:29], v[28:29]
	v_dual_add_f32 v2, v18, v2 :: v_dual_mov_b32 v30, v15
	v_mov_b32_e32 v36, v12
	v_mov_b64_e32 v[32:33], 0x40c0000040800000
	s_delay_alu instid0(VALU_DEP_4) | instskip(SKIP_2) | instid1(VALU_DEP_3)
	v_pk_mul_f32 v[22:23], v[28:29], v[34:35]
	v_dual_mul_f32 v38, v24, v15 :: v_dual_mov_b32 v28, v11
	v_pk_mul_f32 v[12:13], v[12:13], v[30:31] op_sel:[1,0] op_sel_hi:[0,1]
	v_mul_f32_e32 v19, v11, v22
	s_delay_alu instid0(VALU_DEP_4) | instskip(SKIP_2) | instid1(VALU_DEP_4)
	v_pk_mul_f32 v[10:11], v[24:25], v[22:23]
	v_mov_b32_e32 v11, v29
	v_div_scale_f32 v25, null, v29, v29, v38
	v_dual_mul_f32 v18, v19, v15 :: v_dual_mov_b32 v35, v24
	s_delay_alu instid0(VALU_DEP_3) | instskip(NEXT) | instid1(VALU_DEP_3)
	v_pk_mul_f32 v[10:11], v[28:29], v[10:11]
	v_rcp_f32_e32 v30, v25
	v_pk_fma_f32 v[22:23], v[16:17], v[4:5], v[12:13] neg_lo:[0,0,1] neg_hi:[0,0,1]
	s_delay_alu instid0(VALU_DEP_3) | instskip(SKIP_3) | instid1(VALU_DEP_4)
	v_mul_f32_e32 v39, v14, v18
	v_pk_mul_f32 v[18:19], v[26:27], v[34:35]
	v_pk_fma_f32 v[12:13], v[16:17], v[4:5], v[12:13]
	v_div_scale_f32 v27, vcc_lo, v38, v29, v38
	v_div_scale_f32 v26, null, v11, v11, v39
	v_fma_f32 v14, -v25, v30, 1.0
	v_pk_mul_f32 v[18:19], v[18:19], v[20:21]
	v_mov_b32_e32 v28, v15
	s_delay_alu instid0(VALU_DEP_4) | instskip(SKIP_4) | instid1(TRANS32_DEP_1)
	v_rcp_f32_e32 v31, v26
	v_div_scale_f32 v20, s0, v39, v11, v39
	v_fmac_f32_e32 v30, v14, v30
	v_div_scale_f32 v4, null, v29, v29, v19
	v_pk_mul_f32 v[14:15], v[10:11], v[28:29]
	v_fma_f32 v12, -v26, v31, 1.0
	s_delay_alu instid0(VALU_DEP_4) | instskip(NEXT) | instid1(VALU_DEP_4)
	v_mul_f32_e32 v17, v27, v30
	v_rcp_f32_e32 v10, v4
	v_div_scale_f32 v16, null, v29, v29, v18
	s_delay_alu instid0(VALU_DEP_3) | instskip(NEXT) | instid1(VALU_DEP_3)
	v_fmac_f32_e32 v31, v12, v31
	v_fma_f32 v12, -v25, v17, v27
	v_div_scale_f32 v35, s1, v19, v29, v19
	s_delay_alu instid0(VALU_DEP_4) | instskip(NEXT) | instid1(VALU_DEP_3)
	v_rcp_f32_e32 v21, v16
	v_mul_f32_e32 v28, v20, v31
	s_delay_alu instid0(VALU_DEP_3) | instskip(SKIP_1) | instid1(VALU_DEP_3)
	v_fmac_f32_e32 v17, v12, v30
	v_fma_f32 v12, -v4, v10, 1.0
	v_fma_f32 v23, -v26, v28, v20
	s_delay_alu instid0(VALU_DEP_3) | instskip(NEXT) | instid1(VALU_DEP_3)
	v_dual_mul_f32 v2, v2, v14 :: v_dual_fma_f32 v27, -v25, v17, v27
	v_dual_fmac_f32 v10, v12, v10 :: v_dual_mov_b32 v25, v34
	s_delay_alu instid0(VALU_DEP_3) | instskip(NEXT) | instid1(VALU_DEP_3)
	v_dual_fmac_f32 v28, v23, v31 :: v_dual_mov_b32 v23, v13
	v_div_fmas_f32 v27, v27, v30, v17
	v_fma_f32 v14, -v16, v21, 1.0
	s_delay_alu instid0(VALU_DEP_4) | instskip(SKIP_2) | instid1(VALU_DEP_3)
	v_pk_mul_f32 v[12:13], v[24:25], v[32:33]
	v_div_scale_f32 v24, null, v15, v15, v2
	v_dual_fma_f32 v17, -v26, v28, v20 :: v_dual_mul_f32 v20, v35, v10
	v_pk_mul_f32 v[12:13], v[12:13], v[22:23]
	s_delay_alu instid0(VALU_DEP_3) | instskip(SKIP_1) | instid1(VALU_DEP_2)
	v_rcp_f32_e32 v22, v24
	s_mov_b32 vcc_lo, s0
	v_dual_fmac_f32 v21, v14, v21 :: v_dual_fma_f32 v25, -v4, v20, v35
	s_delay_alu instid0(VALU_DEP_2) | instskip(SKIP_2) | instid1(VALU_DEP_3)
	v_div_scale_f32 v23, null, v11, v11, v13
	v_div_fmas_f32 v17, v17, v31, v28
	v_div_scale_f32 v14, s2, v18, v29, v18
	v_rcp_f32_e32 v28, v23
	v_fma_f32 v26, -v24, v22, 1.0
	v_div_scale_f32 v31, null, v29, v29, v12
	s_delay_alu instid0(VALU_DEP_3) | instskip(SKIP_1) | instid1(TRANS32_DEP_1)
	v_dual_mul_f32 v30, v14, v21 :: v_dual_fmac_f32 v20, v25, v10
	s_mov_b32 vcc_lo, s1
	v_fma_f32 v32, -v23, v28, 1.0
	v_fmac_f32_e32 v22, v26, v22
	v_div_scale_f32 v26, s0, v2, v15, v2
	v_rcp_f32_e32 v33, v31
	v_fma_f32 v25, -v16, v30, v14
	s_delay_alu instid0(VALU_DEP_2) | instskip(SKIP_2) | instid1(TRANS32_DEP_1)
	v_dual_fmac_f32 v28, v32, v28 :: v_dual_mul_f32 v34, v26, v22
	v_fma_f32 v4, -v4, v20, v35
	v_div_scale_f32 v32, s3, v13, v11, v13
	v_fma_f32 v40, -v31, v33, 1.0
	v_fmac_f32_e32 v30, v25, v21
	s_delay_alu instid0(VALU_DEP_4) | instskip(NEXT) | instid1(VALU_DEP_4)
	v_div_fmas_f32 v10, v4, v10, v20
	v_mul_f32_e32 v35, v32, v28
	v_fma_f32 v25, -v24, v34, v26
	s_mov_b32 vcc_lo, s2
	v_fma_f32 v4, -v16, v30, v14
	v_div_fixup_f32 v17, v17, v11, v39
	v_dual_fma_f32 v14, -v23, v35, v32 :: v_dual_fmac_f32 v33, v40, v33
	v_fmac_f32_e32 v34, v25, v22
	v_div_scale_f32 v40, s4, v12, v29, v12
	v_div_fmas_f32 v21, v4, v21, v30
	s_delay_alu instid0(VALU_DEP_4) | instskip(SKIP_1) | instid1(VALU_DEP_3)
	v_fmac_f32_e32 v35, v14, v28
	s_mov_b32 vcc_lo, s0
	v_mul_f32_e32 v20, v40, v33
	s_delay_alu instid0(VALU_DEP_1) | instskip(NEXT) | instid1(VALU_DEP_1)
	v_dual_fma_f32 v4, -v24, v34, v26 :: v_dual_fma_f32 v16, -v31, v20, v40
	v_div_fmas_f32 v4, v4, v22, v34
	s_mov_b32 vcc_lo, s3
	s_delay_alu instid0(VALU_DEP_2) | instskip(NEXT) | instid1(VALU_DEP_2)
	v_dual_fmac_f32 v20, v16, v33 :: v_dual_mov_b32 v16, v5
	v_div_fixup_f32 v2, v4, v15, v2
	s_delay_alu instid0(VALU_DEP_1) | instskip(NEXT) | instid1(VALU_DEP_1)
	v_dual_fma_f32 v5, -v23, v35, v32 :: v_dual_add_f32 v2, v6, v2
	v_div_fmas_f32 v5, v5, v28, v35
	s_mov_b32 vcc_lo, s4
	s_delay_alu instid0(VALU_DEP_1) | instskip(SKIP_3) | instid1(VALU_DEP_4)
	v_div_fixup_f32 v13, v5, v11, v13
	v_fma_f32 v4, -v31, v20, v40
	v_div_fixup_f32 v11, v10, v29, v19
	v_div_fixup_f32 v10, v21, v29, v18
	v_add_f32_e32 v2, v13, v2
	s_delay_alu instid0(VALU_DEP_4) | instskip(SKIP_2) | instid1(VALU_DEP_3)
	v_div_fmas_f32 v6, v4, v33, v20
	v_cmp_lt_f32_e32 vcc_lo, v9, v3
	v_pk_add_f32 v[4:5], v[36:37], v[16:17]
	v_div_fixup_f32 v6, v6, v29, v12
	v_cndmask_b32_e32 v9, v9, v3, vcc_lo
	v_div_fixup_f32 v3, v27, v29, v38
	v_cmp_lt_f32_e32 vcc_lo, v1, v8
	v_pk_add_f32 v[12:13], v[10:11], v[4:5]
	s_delay_alu instid0(VALU_DEP_3) | instskip(SKIP_1) | instid1(VALU_DEP_2)
	v_dual_add_f32 v28, v6, v2 :: v_dual_add_f32 v7, v7, v3
	v_cndmask_b32_e32 v8, v8, v1, vcc_lo
	v_mov_b64_e32 v[10:11], v[28:29]
.LBB27_52:
	s_or_b32 exec_lo, exec_lo, s5
.LBB27_53:
	s_delay_alu instid0(SALU_CYCLE_1)
	s_or_b32 exec_lo, exec_lo, s6
.LBB27_54:
	s_mov_b32 s28, 0
                                        ; implicit-def: $vgpr3
                                        ; implicit-def: $vgpr15
                                        ; implicit-def: $vgpr4_vgpr5
	s_mov_b32 s0, exec_lo
	v_cmpx_eq_u32_e32 0, v0
	s_xor_b32 s5, exec_lo, s0
	s_cbranch_execz .LBB27_58
; %bb.55:
	s_wait_dscnt 0x1
	v_mov_b64_e32 v[4:5], s[16:17]
	s_wait_dscnt 0x0
	v_dual_mov_b32 v3, s15 :: v_dual_mov_b32 v2, s14
	v_dual_mov_b32 v1, s13 :: v_dual_mov_b32 v15, s12
	v_mov_b32_e32 v6, s18
	s_cmp_eq_u64 s[8:9], 0
	s_cbranch_scc1 .LBB27_57
; %bb.56:
	v_mov_b64_e32 v[2:3], s[16:17]
	v_dual_mov_b32 v4, s12 :: v_dual_mov_b32 v5, s16
	v_dual_mov_b32 v14, v12 :: v_dual_mov_b32 v15, v11
	v_mul_f32_e32 v6, s12, v12
	v_pk_mul_f32 v[22:23], v[10:11], v[10:11]
	v_pk_add_f32 v[16:17], v[2:3], v[12:13]
	v_dual_mov_b32 v16, s16 :: v_dual_mov_b32 v25, s12
	s_delay_alu instid0(VALU_DEP_4) | instskip(SKIP_3) | instid1(VALU_DEP_3)
	v_pk_fma_f32 v[18:19], v[4:5], v[14:15], v[6:7] op_sel_hi:[1,1,0] neg_lo:[1,0,0] neg_hi:[1,0,0]
	v_dual_mov_b32 v5, v11 :: v_dual_subrev_f32 v7, s15, v7
	v_dual_mov_b32 v24, v23 :: v_dual_add_f32 v31, s18, v10
	v_mov_b32_e32 v10, v23
	v_pk_mul_f32 v[20:21], s[12:13], v[4:5] op_sel_hi:[0,1]
	s_delay_alu instid0(VALU_DEP_4) | instskip(SKIP_3) | instid1(VALU_DEP_4)
	v_mul_f32_e32 v6, v7, v7
	v_cmp_gt_f32_e64 s0, s13, v8
	v_mul_f32_e32 v22, v7, v11
	v_pk_mul_f32 v[2:3], v[2:3], v[10:11]
	v_dual_mov_b32 v14, v21 :: v_dual_mul_f32 v1, v7, v6
	v_dual_mov_b32 v28, v11 :: v_dual_mul_f32 v29, 0x40400000, v7
	s_delay_alu instid0(VALU_DEP_2) | instskip(SKIP_1) | instid1(VALU_DEP_4)
	v_pk_fma_f32 v[14:15], s[12:13], v[4:5], v[14:15] op_sel_hi:[0,1,1] neg_lo:[0,0,1] neg_hi:[0,0,1]
	v_dual_sub_f32 v5, s12, v11 :: v_dual_mov_b32 v15, v11
	v_dual_mul_f32 v18, s12, v1 :: v_dual_mul_f32 v1, v7, v1
	s_delay_alu instid0(VALU_DEP_2) | instskip(NEXT) | instid1(VALU_DEP_2)
	v_pk_add_f32 v[14:15], v[24:25], v[14:15]
	v_dual_mov_b32 v24, v11 :: v_dual_mul_f32 v18, v11, v18
	s_delay_alu instid0(VALU_DEP_2) | instskip(SKIP_1) | instid1(VALU_DEP_3)
	v_dual_mul_f32 v26, s12, v1 :: v_dual_mov_b32 v25, v15
	v_div_scale_f32 v30, null, v15, v15, v22
	v_dual_mov_b32 v27, v15 :: v_dual_mul_f32 v32, v5, v18
	s_delay_alu instid0(VALU_DEP_2) | instskip(NEXT) | instid1(VALU_DEP_1)
	v_rcp_f32_e32 v33, v30
	v_pk_mul_f32 v[24:25], v[24:25], v[26:27]
	v_div_scale_f32 v26, vcc_lo, v22, v15, v22
	s_delay_alu instid0(VALU_DEP_2) | instskip(NEXT) | instid1(TRANS32_DEP_1)
	v_div_scale_f32 v23, null, v25, v25, v32
	v_fma_f32 v1, -v30, v33, 1.0
	v_mul_f32_e32 v18, s12, v6
	s_delay_alu instid0(VALU_DEP_3) | instskip(NEXT) | instid1(VALU_DEP_2)
	v_rcp_f32_e32 v27, v23
	v_fmac_f32_e32 v33, v1, v33
	s_delay_alu instid0(VALU_DEP_2) | instskip(SKIP_2) | instid1(VALU_DEP_4)
	v_pk_mul_f32 v[10:11], v[28:29], v[18:19]
	v_cndmask_b32_e64 v1, s13, v8, s0
	v_div_scale_f32 v29, s0, v32, v25, v32
	v_mul_f32_e32 v8, v26, v33
	s_delay_alu instid0(TRANS32_DEP_1) | instskip(SKIP_1) | instid1(VALU_DEP_3)
	v_fma_f32 v4, -v23, v27, 1.0
	v_div_scale_f32 v28, null, v15, v15, v11
	v_dual_mov_b32 v21, s12 :: v_dual_fma_f32 v5, -v30, v8, v26
	s_delay_alu instid0(VALU_DEP_3) | instskip(NEXT) | instid1(VALU_DEP_3)
	v_fmac_f32_e32 v27, v4, v27
	v_rcp_f32_e32 v35, v28
	v_div_scale_f32 v34, null, v15, v15, v10
	s_delay_alu instid0(VALU_DEP_3) | instskip(NEXT) | instid1(VALU_DEP_3)
	v_fmac_f32_e32 v8, v5, v33
	v_mul_f32_e32 v36, v29, v27
	v_mov_b64_e32 v[4:5], 0x4080000040c00000
	v_pk_fma_f32 v[18:19], v[20:21], v[12:13], v[2:3] neg_lo:[0,0,1] neg_hi:[0,0,1]
	s_delay_alu instid0(TRANS32_DEP_1) | instskip(SKIP_3) | instid1(VALU_DEP_4)
	v_fma_f32 v37, -v28, v35, 1.0
	v_fma_f32 v26, -v30, v8, v26
	v_fma_f32 v30, -v23, v36, v29
	v_pk_fma_f32 v[2:3], v[20:21], v[12:13], v[2:3]
	v_dual_mov_b32 v3, v19 :: v_dual_fmac_f32 v35, v37, v35
	s_delay_alu instid0(VALU_DEP_4) | instskip(NEXT) | instid1(VALU_DEP_4)
	v_div_fmas_f32 v8, v26, v33, v8
	v_fmac_f32_e32 v36, v30, v27
	v_pk_mul_f32 v[4:5], v[6:7], v[4:5]
	v_div_scale_f32 v26, s1, v11, v15, v11
	s_delay_alu instid0(VALU_DEP_4) | instskip(NEXT) | instid1(VALU_DEP_4)
	v_div_fixup_f32 v8, v8, v15, v22
	v_fma_f32 v29, -v23, v36, v29
	v_pk_mul_f32 v[22:23], v[14:15], v[24:25]
	v_pk_mul_f32 v[2:3], v[4:5], v[2:3]
	v_rcp_f32_e32 v18, v34
	s_mov_b32 vcc_lo, s0
	v_mul_f32_e32 v6, v26, v35
	v_div_scale_f32 v7, null, v23, v23, v22
	v_div_scale_f32 v14, null, v25, v25, v2
	s_delay_alu instid0(TRANS32_DEP_1) | instskip(NEXT) | instid1(VALU_DEP_3)
	v_fma_f32 v30, -v34, v18, 1.0
	v_rcp_f32_e32 v5, v7
	v_div_fmas_f32 v13, v29, v27, v36
	s_delay_alu instid0(VALU_DEP_3) | instskip(SKIP_2) | instid1(TRANS32_DEP_2)
	v_rcp_f32_e32 v21, v14
	v_div_scale_f32 v27, null, v15, v15, v3
	v_div_scale_f32 v4, s2, v10, v15, v10
	v_fma_f32 v20, -v7, v5, 1.0
	v_fmac_f32_e32 v18, v30, v18
	s_delay_alu instid0(TRANS32_DEP_1)
	v_fma_f32 v29, -v14, v21, 1.0
	v_rcp_f32_e32 v30, v27
	v_fma_f32 v19, -v28, v6, v26
	v_fmac_f32_e32 v5, v20, v5
	v_div_scale_f32 v20, s0, v22, v23, v22
	v_dual_fmac_f32 v21, v29, v21 :: v_dual_mul_f32 v24, v4, v18
	s_delay_alu instid0(VALU_DEP_2) | instskip(SKIP_1) | instid1(VALU_DEP_3)
	v_dual_fmac_f32 v6, v19, v35 :: v_dual_mul_f32 v33, v20, v5
	v_div_scale_f32 v29, s3, v2, v25, v2
	v_fma_f32 v19, -v34, v24, v4
	v_fma_f32 v36, -v27, v30, 1.0
	s_delay_alu instid0(VALU_DEP_3) | instskip(SKIP_1) | instid1(VALU_DEP_3)
	v_dual_fma_f32 v26, -v28, v6, v26 :: v_dual_mul_f32 v28, v29, v21
	s_mov_b32 vcc_lo, s1
	v_fmac_f32_e32 v24, v19, v18
	s_delay_alu instid0(VALU_DEP_3) | instskip(SKIP_2) | instid1(VALU_DEP_3)
	v_dual_fma_f32 v19, -v7, v33, v20 :: v_dual_fmac_f32 v30, v36, v30
	v_div_scale_f32 v36, s4, v3, v15, v3
	v_div_fmas_f32 v6, v26, v35, v6
	v_dual_fma_f32 v4, -v34, v24, v4 :: v_dual_fmac_f32 v33, v19, v5
	s_delay_alu instid0(VALU_DEP_3) | instskip(SKIP_2) | instid1(VALU_DEP_3)
	v_dual_mul_f32 v26, v36, v30 :: v_dual_fma_f32 v19, -v14, v28, v29
	s_mov_b32 vcc_lo, s2
	v_div_fixup_f32 v13, v13, v25, v32
	v_div_fmas_f32 v18, v4, v18, v24
	v_fma_f32 v4, -v7, v33, v20
	v_fmac_f32_e32 v28, v19, v21
	v_fma_f32 v7, -v27, v26, v36
	s_mov_b32 vcc_lo, s0
	s_delay_alu instid0(VALU_DEP_3) | instskip(NEXT) | instid1(VALU_DEP_2)
	v_div_fmas_f32 v4, v4, v5, v33
	v_dual_fma_f32 v5, -v14, v28, v29 :: v_dual_fmac_f32 v26, v7, v30
	s_mov_b32 vcc_lo, s3
	s_delay_alu instid0(VALU_DEP_2) | instskip(NEXT) | instid1(VALU_DEP_2)
	v_div_fixup_f32 v4, v4, v23, v22
	v_div_fmas_f32 v5, v5, v21, v28
	s_delay_alu instid0(VALU_DEP_3) | instskip(SKIP_1) | instid1(VALU_DEP_2)
	v_fma_f32 v7, -v27, v26, v36
	s_mov_b32 vcc_lo, s4
	v_div_fixup_f32 v2, v5, v25, v2
	s_delay_alu instid0(VALU_DEP_2) | instskip(SKIP_3) | instid1(VALU_DEP_4)
	v_div_fmas_f32 v19, v7, v30, v26
	v_div_fixup_f32 v7, v6, v15, v11
	v_div_fixup_f32 v6, v18, v15, v10
	v_cmp_lt_f32_e32 vcc_lo, s14, v9
	v_div_fixup_f32 v10, v19, v15, v3
	v_add_f32_e32 v14, v31, v4
	v_pk_add_f32 v[4:5], v[16:17], v[12:13]
	s_delay_alu instid0(VALU_DEP_2) | instskip(SKIP_1) | instid1(VALU_DEP_3)
	v_dual_add_f32 v3, s15, v8 :: v_dual_add_f32 v11, v2, v14
	v_cndmask_b32_e32 v2, s14, v9, vcc_lo
	v_pk_add_f32 v[4:5], v[4:5], v[6:7]
	s_delay_alu instid0(VALU_DEP_3)
	v_add_f32_e32 v6, v10, v11
.LBB27_57:
	s_mov_b32 s28, exec_lo
.LBB27_58:
	s_or_b32 exec_lo, exec_lo, s5
	s_delay_alu instid0(SALU_CYCLE_1)
	s_and_b32 vcc_lo, exec_lo, s27
	s_cbranch_vccnz .LBB27_12
.LBB27_59:
	s_branch .LBB27_99
.LBB27_60:
                                        ; implicit-def: $vgpr10_vgpr11
                                        ; implicit-def: $vgpr8_vgpr9
                                        ; implicit-def: $vgpr12_vgpr13
                                        ; implicit-def: $vgpr14
	s_cbranch_execz .LBB27_86
; %bb.61:
	s_sub_co_i32 s0, s8, s26
	s_mov_b32 s1, exec_lo
                                        ; implicit-def: $vgpr14
	v_cmpx_gt_u32_e64 s0, v0
	s_cbranch_execz .LBB27_63
; %bb.62:
	s_wait_dscnt 0x3
	global_load_b32 v14, v0, s[24:25] scale_offset
.LBB27_63:
	s_wait_xcnt 0x0
	s_or_b32 exec_lo, exec_lo, s1
	s_wait_loadcnt_dscnt 0x3
	v_mov_b32_e32 v15, v14
	v_mov_b64_e32 v[10:11], 0x3f80000000000000
	v_mov_b64_e32 v[12:13], 0
	v_or_b32_e32 v1, 0x100, v0
	s_mov_b32 s1, exec_lo
	v_mov_b64_e32 v[8:9], v[14:15]
	s_delay_alu instid0(VALU_DEP_2)
	v_cmpx_gt_u32_e64 s0, v1
	s_cbranch_execz .LBB27_65
; %bb.64:
	global_load_b32 v1, v0, s[24:25] offset:1024 scale_offset
	v_mov_b64_e32 v[8:9], 0x40c0000040800000
	v_mov_b64_e32 v[10:11], 0x3e8000003f000000
	s_wait_loadcnt_dscnt 0x0
	v_dual_mov_b32 v5, 0 :: v_dual_sub_f32 v2, v1, v14
	v_cmp_lt_f32_e32 vcc_lo, v1, v14
	s_delay_alu instid0(VALU_DEP_2) | instskip(NEXT) | instid1(VALU_DEP_1)
	v_dual_mul_f32 v3, 0x40400000, v2 :: v_dual_mov_b32 v4, v2
	v_pk_mul_f32 v[6:7], v[2:3], v[4:5]
	s_delay_alu instid0(VALU_DEP_1) | instskip(NEXT) | instid1(VALU_DEP_1)
	v_mul_f32_e32 v4, v2, v6
	v_dual_mov_b32 v3, v6 :: v_dual_mul_f32 v12, 0, v4
	s_delay_alu instid0(VALU_DEP_1) | instskip(SKIP_1) | instid1(VALU_DEP_2)
	v_pk_mul_f32 v[8:9], v[2:3], v[8:9]
	v_dual_mul_f32 v3, v2, v4 :: v_dual_mov_b32 v4, v5
	v_pk_mul_f32 v[8:9], v[8:9], 0 op_sel_hi:[1,0]
	s_delay_alu instid0(VALU_DEP_2) | instskip(SKIP_1) | instid1(VALU_DEP_3)
	v_fmamk_f32 v3, v3, 0x3e000000, v5
	v_fmamk_f32 v5, v12, 0x3e800000, v5
	v_pk_mul_f32 v[10:11], v[8:9], v[10:11]
	v_cndmask_b32_e32 v8, v14, v1, vcc_lo
	v_cmp_lt_f32_e32 vcc_lo, v14, v1
	s_delay_alu instid0(VALU_DEP_4) | instskip(NEXT) | instid1(VALU_DEP_4)
	v_pk_fma_f32 v[12:13], v[6:7], 0.5, v[4:5] op_sel_hi:[1,0,1]
	v_dual_add_f32 v3, v11, v3 :: v_dual_mov_b32 v11, 2.0
	v_dual_cndmask_b32 v9, v14, v1 :: v_dual_fmac_f32 v14, 0.5, v2
	s_delay_alu instid0(VALU_DEP_2)
	v_add_f32_e32 v10, v10, v3
.LBB27_65:
	s_or_b32 exec_lo, exec_lo, s1
	v_mbcnt_lo_u32_b32 v20, -1, 0
	s_wait_dscnt 0x0
	v_and_b32_e32 v2, 0xe0, v0
	s_min_u32 s5, s0, 0x100
	v_dual_mov_b32 v7, v13 :: v_dual_mov_b32 v6, v12
	v_cmp_ne_u32_e32 vcc_lo, 31, v20
	s_delay_alu instid0(VALU_DEP_3) | instskip(SKIP_2) | instid1(VALU_DEP_2)
	v_sub_nc_u32_e64 v18, s5, v2 clamp
	v_dual_mov_b32 v3, v11 :: v_dual_add_nc_u32 v2, 1, v20
	v_add_co_ci_u32_e64 v1, null, 0, v20, vcc_lo
	v_cmp_lt_u32_e32 vcc_lo, v2, v18
	s_delay_alu instid0(VALU_DEP_2)
	v_dual_mov_b32 v2, v10 :: v_dual_lshlrev_b32 v1, 2, v1
	ds_bpermute_b32 v17, v1, v11
	ds_bpermute_b32 v19, v1, v8
	;; [unrolled: 1-line block ×7, first 2 shown]
	v_mov_b32_e32 v1, v14
	s_and_saveexec_b32 s0, vcc_lo
	s_delay_alu instid0(SALU_CYCLE_1)
	s_xor_b32 s6, exec_lo, s0
	s_cbranch_execz .LBB27_67
; %bb.66:
	s_wait_dscnt 0x1
	v_dual_mov_b32 v15, v11 :: v_dual_mov_b32 v1, v4
	v_dual_mov_b32 v24, v11 :: v_dual_mov_b32 v25, v12
	v_mov_b32_e32 v27, v17
	s_delay_alu instid0(VALU_DEP_3) | instskip(SKIP_3) | instid1(VALU_DEP_3)
	v_pk_add_f32 v[6:7], v[16:17], v[14:15] neg_lo:[0,1] neg_hi:[0,1]
	v_pk_add_f32 v[2:3], v[14:15], v[16:17]
	s_wait_dscnt 0x0
	v_dual_mov_b32 v26, v5 :: v_dual_add_f32 v15, v10, v22
	v_dual_mov_b32 v10, v17 :: v_dual_mov_b32 v2, v6
	v_mul_f32_e32 v16, v11, v5
	v_pk_add_f32 v[36:37], v[12:13], v[0:1]
	v_dual_sub_f32 v29, v11, v17 :: v_dual_mov_b32 v28, v11
	s_delay_alu instid0(VALU_DEP_4) | instskip(NEXT) | instid1(VALU_DEP_4)
	v_pk_mul_f32 v[22:23], v[2:3], v[2:3]
	v_pk_fma_f32 v[24:25], v[24:25], v[26:27], v[16:17] op_sel_hi:[1,1,0] neg_lo:[1,0,0] neg_hi:[1,0,0]
	v_pk_mul_f32 v[26:27], v[10:11], v[10:11]
	v_dual_mov_b32 v24, v17 :: v_dual_mov_b32 v30, v11
	v_mov_b32_e32 v32, v17
	v_pk_mul_f32 v[34:35], v[2:3], v[22:23]
	v_dual_mul_f32 v1, v6, v17 :: v_dual_mov_b32 v2, v11
	v_dual_mov_b32 v36, v12 :: v_dual_mov_b32 v31, v27
	s_delay_alu instid0(VALU_DEP_3) | instskip(NEXT) | instid1(VALU_DEP_4)
	v_mul_f32_e32 v10, v11, v34
	v_pk_mul_f32 v[34:35], v[6:7], v[34:35]
	s_delay_alu instid0(VALU_DEP_4) | instskip(NEXT) | instid1(VALU_DEP_3)
	v_div_scale_f32 v38, null, v3, v3, v1
	v_dual_mov_b32 v35, v3 :: v_dual_mul_f32 v7, v10, v17
	v_div_scale_f32 v41, vcc_lo, v1, v3, v1
	s_delay_alu instid0(VALU_DEP_3) | instskip(NEXT) | instid1(VALU_DEP_2)
	v_rcp_f32_e32 v39, v38
	v_pk_mul_f32 v[34:35], v[2:3], v[34:35]
	s_delay_alu instid0(VALU_DEP_3) | instskip(SKIP_2) | instid1(VALU_DEP_3)
	v_dual_mul_f32 v40, v29, v7 :: v_dual_fma_f32 v2, -v11, v17, v27
	v_mov_b32_e32 v29, v6
	v_mov_b32_e32 v23, 0x40400000
	v_div_scale_f32 v7, null, v35, v35, v40
	s_delay_alu instid0(TRANS32_DEP_1) | instskip(NEXT) | instid1(VALU_DEP_3)
	v_fma_f32 v16, -v38, v39, 1.0
	v_pk_mul_f32 v[10:11], v[28:29], v[22:23]
	v_add_f32_e32 v28, v26, v2
	s_delay_alu instid0(VALU_DEP_4) | instskip(SKIP_4) | instid1(TRANS32_DEP_1)
	v_rcp_f32_e32 v23, v7
	v_div_scale_f32 v43, s0, v40, v35, v40
	v_dual_fmac_f32 v39, v16, v39 :: v_dual_mov_b32 v33, v26
	v_pk_mul_f32 v[10:11], v[10:11], v[24:25]
	v_mov_b64_e32 v[26:27], 0x40c0000040800000
	v_fma_f32 v2, -v7, v23, 1.0
	s_delay_alu instid0(VALU_DEP_4) | instskip(SKIP_2) | instid1(VALU_DEP_4)
	v_mul_f32_e32 v29, v41, v39
	v_pk_mul_f32 v[12:13], v[12:13], v[32:33] op_sel:[1,0] op_sel_hi:[0,1]
	v_div_scale_f32 v42, null, v3, v3, v11
	v_fmac_f32_e32 v23, v2, v23
	s_delay_alu instid0(VALU_DEP_4) | instskip(NEXT) | instid1(VALU_DEP_3)
	v_dual_fma_f32 v16, -v38, v29, v41 :: v_dual_mov_b32 v2, v17
	v_rcp_f32_e32 v32, v42
	v_pk_fma_f32 v[24:25], v[30:31], v[4:5], v[12:13]
	v_div_scale_f32 v44, null, v3, v3, v10
	s_delay_alu instid0(VALU_DEP_3) | instskip(SKIP_2) | instid1(TRANS32_DEP_1)
	v_fmac_f32_e32 v29, v16, v39
	v_pk_mul_f32 v[16:17], v[34:35], v[2:3]
	v_pk_fma_f32 v[12:13], v[30:31], v[4:5], v[12:13] neg_lo:[0,0,1] neg_hi:[0,0,1]
	v_fma_f32 v2, -v42, v32, 1.0
	s_delay_alu instid0(VALU_DEP_4) | instskip(NEXT) | instid1(VALU_DEP_4)
	v_dual_mov_b32 v13, v25 :: v_dual_fma_f32 v34, -v38, v29, v41
	v_dual_mul_f32 v16, v28, v16 :: v_dual_mul_f32 v33, v43, v23
	s_delay_alu instid0(VALU_DEP_1) | instskip(NEXT) | instid1(VALU_DEP_2)
	v_div_scale_f32 v25, null, v17, v17, v16
	v_fma_f32 v38, -v7, v33, v43
	s_delay_alu instid0(VALU_DEP_4) | instskip(SKIP_2) | instid1(VALU_DEP_2)
	v_div_fmas_f32 v24, v34, v39, v29
	v_rcp_f32_e32 v29, v44
	s_mov_b32 vcc_lo, s0
	v_fmac_f32_e32 v33, v38, v23
	v_fmac_f32_e32 v32, v2, v32
	v_div_fixup_f32 v1, v24, v3, v1
	s_delay_alu instid0(TRANS32_DEP_1) | instskip(NEXT) | instid1(VALU_DEP_4)
	v_fma_f32 v24, -v44, v29, 1.0
	v_dual_fma_f32 v2, -v7, v33, v43 :: v_dual_mov_b32 v7, v22
	v_div_scale_f32 v22, s1, v11, v3, v11
	s_delay_alu instid0(VALU_DEP_2) | instskip(SKIP_1) | instid1(VALU_DEP_2)
	v_div_fmas_f32 v2, v2, v23, v33
	s_mov_b32 vcc_lo, s1
	v_mul_f32_e32 v4, v22, v32
	v_pk_mul_f32 v[6:7], v[6:7], v[26:27]
	s_delay_alu instid0(VALU_DEP_2) | instskip(NEXT) | instid1(VALU_DEP_2)
	v_dual_fmac_f32 v29, v24, v29 :: v_dual_fma_f32 v23, -v42, v4, v22
	v_pk_mul_f32 v[6:7], v[6:7], v[12:13]
	v_rcp_f32_e32 v13, v25
	v_div_scale_f32 v12, s2, v10, v3, v10
	s_delay_alu instid0(VALU_DEP_3) | instskip(NEXT) | instid1(VALU_DEP_3)
	v_fmac_f32_e32 v4, v23, v32
	v_div_scale_f32 v24, null, v35, v35, v7
	v_div_scale_f32 v30, null, v3, v3, v6
	s_delay_alu instid0(TRANS32_DEP_1) | instskip(NEXT) | instid1(VALU_DEP_3)
	v_fma_f32 v26, -v25, v13, 1.0
	v_rcp_f32_e32 v27, v24
	v_mul_f32_e32 v28, v12, v29
	s_delay_alu instid0(VALU_DEP_3) | instskip(NEXT) | instid1(VALU_DEP_2)
	v_rcp_f32_e32 v33, v30
	v_fmac_f32_e32 v13, v26, v13
	v_div_scale_f32 v26, s0, v16, v17, v16
	s_delay_alu instid0(TRANS32_DEP_2) | instskip(SKIP_1) | instid1(TRANS32_DEP_1)
	v_fma_f32 v31, -v24, v27, 1.0
	v_fma_f32 v23, -v44, v28, v12
	v_fma_f32 v38, -v30, v33, 1.0
	s_delay_alu instid0(VALU_DEP_4) | instskip(NEXT) | instid1(VALU_DEP_4)
	v_mul_f32_e32 v34, v26, v13
	v_dual_fma_f32 v22, -v42, v4, v22 :: v_dual_fmac_f32 v27, v31, v27
	v_div_scale_f32 v31, s3, v7, v35, v7
	s_delay_alu instid0(VALU_DEP_3) | instskip(NEXT) | instid1(VALU_DEP_2)
	v_dual_fmac_f32 v28, v23, v29 :: v_dual_fma_f32 v23, -v25, v34, v26
	v_dual_fmac_f32 v33, v38, v33 :: v_dual_mul_f32 v39, v31, v27
	v_div_scale_f32 v38, s4, v6, v3, v6
	v_div_fmas_f32 v22, v22, v32, v4
	s_delay_alu instid0(VALU_DEP_4) | instskip(NEXT) | instid1(VALU_DEP_4)
	v_dual_fma_f32 v4, -v44, v28, v12 :: v_dual_fmac_f32 v34, v23, v13
	v_fma_f32 v12, -v24, v39, v31
	s_mov_b32 vcc_lo, s2
	v_mul_f32_e32 v23, v38, v33
	s_delay_alu instid0(VALU_DEP_3)
	v_div_fmas_f32 v28, v4, v29, v28
	v_fma_f32 v4, -v25, v34, v26
	s_mov_b32 vcc_lo, s0
	v_div_fixup_f32 v11, v22, v3, v11
	v_fma_f32 v25, -v30, v23, v38
	v_div_fixup_f32 v10, v28, v3, v10
	v_div_fmas_f32 v4, v4, v13, v34
	v_div_fixup_f32 v13, v2, v35, v40
	s_mov_b32 vcc_lo, s3
	s_delay_alu instid0(VALU_DEP_2) | instskip(SKIP_1) | instid1(VALU_DEP_1)
	v_div_fixup_f32 v4, v4, v17, v16
	v_dual_fmac_f32 v39, v12, v27 :: v_dual_mov_b32 v12, v5
	v_dual_add_f32 v15, v15, v4 :: v_dual_fma_f32 v2, -v24, v39, v31
	s_delay_alu instid0(VALU_DEP_1) | instskip(SKIP_1) | instid1(VALU_DEP_1)
	v_div_fmas_f32 v2, v2, v27, v39
	s_mov_b32 vcc_lo, s4
	v_div_fixup_f32 v2, v2, v35, v7
	s_delay_alu instid0(VALU_DEP_1) | instskip(NEXT) | instid1(VALU_DEP_1)
	v_dual_fmac_f32 v23, v25, v33 :: v_dual_add_f32 v2, v2, v15
	v_fma_f32 v5, -v30, v23, v38
	s_delay_alu instid0(VALU_DEP_1) | instskip(SKIP_2) | instid1(VALU_DEP_3)
	v_div_fmas_f32 v16, v5, v33, v23
	v_pk_add_f32 v[4:5], v[36:37], v[12:13]
	v_cmp_lt_f32_e32 vcc_lo, v9, v21
	v_div_fixup_f32 v12, v16, v3, v6
	s_delay_alu instid0(VALU_DEP_3) | instskip(SKIP_2) | instid1(VALU_DEP_4)
	v_pk_add_f32 v[6:7], v[10:11], v[4:5]
	v_cndmask_b32_e32 v9, v9, v21, vcc_lo
	v_cmp_lt_f32_e32 vcc_lo, v19, v8
	v_dual_add_f32 v1, v14, v1 :: v_dual_add_f32 v2, v12, v2
	s_delay_alu instid0(VALU_DEP_4) | instskip(NEXT) | instid1(VALU_DEP_2)
	v_mov_b64_e32 v[12:13], v[6:7]
	v_dual_cndmask_b32 v8, v8, v19, vcc_lo :: v_dual_mov_b32 v14, v1
	s_delay_alu instid0(VALU_DEP_3)
	v_mov_b64_e32 v[10:11], v[2:3]
.LBB27_67:
	s_or_b32 exec_lo, exec_lo, s6
	v_cmp_gt_u32_e32 vcc_lo, 30, v20
	s_mov_b32 s6, exec_lo
	s_wait_dscnt 0x1
	v_cndmask_b32_e64 v4, 0, 2, vcc_lo
	s_delay_alu instid0(VALU_DEP_1)
	v_add_lshl_u32 v15, v4, v20, 2
	ds_bpermute_b32 v17, v15, v3
	ds_bpermute_b32 v19, v15, v8
	;; [unrolled: 1-line block ×6, first 2 shown]
	s_wait_dscnt 0x6
	ds_bpermute_b32 v22, v15, v2
	v_add_nc_u32_e32 v15, 2, v20
	s_delay_alu instid0(VALU_DEP_1)
	v_cmpx_lt_u32_e64 v15, v18
	s_cbranch_execz .LBB27_69
; %bb.68:
	s_wait_dscnt 0x1
	v_dual_mov_b32 v15, v11 :: v_dual_mov_b32 v1, v4
	v_dual_mov_b32 v24, v11 :: v_dual_mov_b32 v25, v12
	v_mov_b32_e32 v27, v17
	s_delay_alu instid0(VALU_DEP_3) | instskip(SKIP_3) | instid1(VALU_DEP_3)
	v_pk_add_f32 v[6:7], v[16:17], v[14:15] neg_lo:[0,1] neg_hi:[0,1]
	v_pk_add_f32 v[2:3], v[14:15], v[16:17]
	s_wait_dscnt 0x0
	v_dual_mov_b32 v26, v5 :: v_dual_add_f32 v15, v10, v22
	v_dual_mov_b32 v10, v17 :: v_dual_mov_b32 v2, v6
	v_mul_f32_e32 v16, v11, v5
	v_pk_add_f32 v[36:37], v[12:13], v[0:1]
	v_dual_sub_f32 v29, v11, v17 :: v_dual_mov_b32 v28, v11
	s_delay_alu instid0(VALU_DEP_4) | instskip(NEXT) | instid1(VALU_DEP_4)
	v_pk_mul_f32 v[22:23], v[2:3], v[2:3]
	v_pk_fma_f32 v[24:25], v[24:25], v[26:27], v[16:17] op_sel_hi:[1,1,0] neg_lo:[1,0,0] neg_hi:[1,0,0]
	v_pk_mul_f32 v[26:27], v[10:11], v[10:11]
	v_dual_mov_b32 v24, v17 :: v_dual_mov_b32 v30, v11
	v_mov_b32_e32 v32, v17
	v_pk_mul_f32 v[34:35], v[2:3], v[22:23]
	v_dual_mul_f32 v1, v6, v17 :: v_dual_mov_b32 v2, v11
	v_dual_mov_b32 v36, v12 :: v_dual_mov_b32 v31, v27
	s_delay_alu instid0(VALU_DEP_3) | instskip(NEXT) | instid1(VALU_DEP_4)
	v_mul_f32_e32 v10, v11, v34
	v_pk_mul_f32 v[34:35], v[6:7], v[34:35]
	s_delay_alu instid0(VALU_DEP_4) | instskip(NEXT) | instid1(VALU_DEP_3)
	v_div_scale_f32 v38, null, v3, v3, v1
	v_dual_mov_b32 v35, v3 :: v_dual_mul_f32 v7, v10, v17
	v_div_scale_f32 v41, vcc_lo, v1, v3, v1
	s_delay_alu instid0(VALU_DEP_3) | instskip(NEXT) | instid1(VALU_DEP_2)
	v_rcp_f32_e32 v39, v38
	v_pk_mul_f32 v[34:35], v[2:3], v[34:35]
	s_delay_alu instid0(VALU_DEP_3) | instskip(SKIP_2) | instid1(VALU_DEP_3)
	v_dual_mul_f32 v40, v29, v7 :: v_dual_fma_f32 v2, -v11, v17, v27
	v_mov_b32_e32 v29, v6
	v_mov_b32_e32 v23, 0x40400000
	v_div_scale_f32 v7, null, v35, v35, v40
	s_delay_alu instid0(TRANS32_DEP_1) | instskip(NEXT) | instid1(VALU_DEP_3)
	v_fma_f32 v16, -v38, v39, 1.0
	v_pk_mul_f32 v[10:11], v[28:29], v[22:23]
	v_add_f32_e32 v28, v26, v2
	s_delay_alu instid0(VALU_DEP_4) | instskip(SKIP_4) | instid1(TRANS32_DEP_1)
	v_rcp_f32_e32 v23, v7
	v_div_scale_f32 v43, s0, v40, v35, v40
	v_dual_fmac_f32 v39, v16, v39 :: v_dual_mov_b32 v33, v26
	v_pk_mul_f32 v[10:11], v[10:11], v[24:25]
	v_mov_b64_e32 v[26:27], 0x40c0000040800000
	v_fma_f32 v2, -v7, v23, 1.0
	s_delay_alu instid0(VALU_DEP_4) | instskip(SKIP_2) | instid1(VALU_DEP_4)
	v_mul_f32_e32 v29, v41, v39
	v_pk_mul_f32 v[12:13], v[12:13], v[32:33] op_sel:[1,0] op_sel_hi:[0,1]
	v_div_scale_f32 v42, null, v3, v3, v11
	v_fmac_f32_e32 v23, v2, v23
	s_delay_alu instid0(VALU_DEP_4) | instskip(NEXT) | instid1(VALU_DEP_3)
	v_dual_fma_f32 v16, -v38, v29, v41 :: v_dual_mov_b32 v2, v17
	v_rcp_f32_e32 v32, v42
	v_pk_fma_f32 v[24:25], v[30:31], v[4:5], v[12:13]
	v_div_scale_f32 v44, null, v3, v3, v10
	s_delay_alu instid0(VALU_DEP_3) | instskip(SKIP_2) | instid1(TRANS32_DEP_1)
	v_fmac_f32_e32 v29, v16, v39
	v_pk_mul_f32 v[16:17], v[34:35], v[2:3]
	v_pk_fma_f32 v[12:13], v[30:31], v[4:5], v[12:13] neg_lo:[0,0,1] neg_hi:[0,0,1]
	v_fma_f32 v2, -v42, v32, 1.0
	s_delay_alu instid0(VALU_DEP_4) | instskip(NEXT) | instid1(VALU_DEP_4)
	v_dual_mov_b32 v13, v25 :: v_dual_fma_f32 v34, -v38, v29, v41
	v_dual_mul_f32 v16, v28, v16 :: v_dual_mul_f32 v33, v43, v23
	s_delay_alu instid0(VALU_DEP_1) | instskip(NEXT) | instid1(VALU_DEP_2)
	v_div_scale_f32 v25, null, v17, v17, v16
	v_fma_f32 v38, -v7, v33, v43
	s_delay_alu instid0(VALU_DEP_4) | instskip(SKIP_2) | instid1(VALU_DEP_2)
	v_div_fmas_f32 v24, v34, v39, v29
	v_rcp_f32_e32 v29, v44
	s_mov_b32 vcc_lo, s0
	v_fmac_f32_e32 v33, v38, v23
	v_fmac_f32_e32 v32, v2, v32
	v_div_fixup_f32 v1, v24, v3, v1
	s_delay_alu instid0(TRANS32_DEP_1) | instskip(NEXT) | instid1(VALU_DEP_4)
	v_fma_f32 v24, -v44, v29, 1.0
	v_dual_fma_f32 v2, -v7, v33, v43 :: v_dual_mov_b32 v7, v22
	v_div_scale_f32 v22, s1, v11, v3, v11
	s_delay_alu instid0(VALU_DEP_2) | instskip(SKIP_1) | instid1(VALU_DEP_2)
	v_div_fmas_f32 v2, v2, v23, v33
	s_mov_b32 vcc_lo, s1
	v_mul_f32_e32 v4, v22, v32
	v_pk_mul_f32 v[6:7], v[6:7], v[26:27]
	s_delay_alu instid0(VALU_DEP_2) | instskip(NEXT) | instid1(VALU_DEP_2)
	v_dual_fmac_f32 v29, v24, v29 :: v_dual_fma_f32 v23, -v42, v4, v22
	v_pk_mul_f32 v[6:7], v[6:7], v[12:13]
	v_rcp_f32_e32 v13, v25
	v_div_scale_f32 v12, s2, v10, v3, v10
	s_delay_alu instid0(VALU_DEP_3) | instskip(NEXT) | instid1(VALU_DEP_3)
	v_fmac_f32_e32 v4, v23, v32
	v_div_scale_f32 v24, null, v35, v35, v7
	v_div_scale_f32 v30, null, v3, v3, v6
	s_delay_alu instid0(TRANS32_DEP_1) | instskip(NEXT) | instid1(VALU_DEP_3)
	v_fma_f32 v26, -v25, v13, 1.0
	v_rcp_f32_e32 v27, v24
	v_mul_f32_e32 v28, v12, v29
	s_delay_alu instid0(VALU_DEP_3) | instskip(NEXT) | instid1(VALU_DEP_2)
	v_rcp_f32_e32 v33, v30
	v_fmac_f32_e32 v13, v26, v13
	v_div_scale_f32 v26, s0, v16, v17, v16
	s_delay_alu instid0(TRANS32_DEP_2) | instskip(SKIP_1) | instid1(TRANS32_DEP_1)
	v_fma_f32 v31, -v24, v27, 1.0
	v_fma_f32 v23, -v44, v28, v12
	v_fma_f32 v38, -v30, v33, 1.0
	s_delay_alu instid0(VALU_DEP_4) | instskip(NEXT) | instid1(VALU_DEP_4)
	v_mul_f32_e32 v34, v26, v13
	v_dual_fma_f32 v22, -v42, v4, v22 :: v_dual_fmac_f32 v27, v31, v27
	v_div_scale_f32 v31, s3, v7, v35, v7
	s_delay_alu instid0(VALU_DEP_3) | instskip(NEXT) | instid1(VALU_DEP_2)
	v_dual_fmac_f32 v28, v23, v29 :: v_dual_fma_f32 v23, -v25, v34, v26
	v_dual_fmac_f32 v33, v38, v33 :: v_dual_mul_f32 v39, v31, v27
	v_div_scale_f32 v38, s4, v6, v3, v6
	v_div_fmas_f32 v22, v22, v32, v4
	s_delay_alu instid0(VALU_DEP_4) | instskip(NEXT) | instid1(VALU_DEP_4)
	v_dual_fma_f32 v4, -v44, v28, v12 :: v_dual_fmac_f32 v34, v23, v13
	v_fma_f32 v12, -v24, v39, v31
	s_mov_b32 vcc_lo, s2
	v_mul_f32_e32 v23, v38, v33
	s_delay_alu instid0(VALU_DEP_3)
	v_div_fmas_f32 v28, v4, v29, v28
	v_fma_f32 v4, -v25, v34, v26
	s_mov_b32 vcc_lo, s0
	v_div_fixup_f32 v11, v22, v3, v11
	v_fma_f32 v25, -v30, v23, v38
	v_div_fixup_f32 v10, v28, v3, v10
	v_div_fmas_f32 v4, v4, v13, v34
	v_div_fixup_f32 v13, v2, v35, v40
	s_mov_b32 vcc_lo, s3
	s_delay_alu instid0(VALU_DEP_2) | instskip(SKIP_1) | instid1(VALU_DEP_1)
	v_div_fixup_f32 v4, v4, v17, v16
	v_dual_fmac_f32 v39, v12, v27 :: v_dual_mov_b32 v12, v5
	v_dual_add_f32 v15, v15, v4 :: v_dual_fma_f32 v2, -v24, v39, v31
	s_delay_alu instid0(VALU_DEP_1) | instskip(SKIP_1) | instid1(VALU_DEP_1)
	v_div_fmas_f32 v2, v2, v27, v39
	s_mov_b32 vcc_lo, s4
	v_div_fixup_f32 v2, v2, v35, v7
	s_delay_alu instid0(VALU_DEP_1) | instskip(NEXT) | instid1(VALU_DEP_1)
	v_dual_fmac_f32 v23, v25, v33 :: v_dual_add_f32 v2, v2, v15
	v_fma_f32 v5, -v30, v23, v38
	s_delay_alu instid0(VALU_DEP_1) | instskip(SKIP_2) | instid1(VALU_DEP_3)
	v_div_fmas_f32 v16, v5, v33, v23
	v_pk_add_f32 v[4:5], v[36:37], v[12:13]
	v_cmp_lt_f32_e32 vcc_lo, v9, v21
	v_div_fixup_f32 v12, v16, v3, v6
	s_delay_alu instid0(VALU_DEP_3) | instskip(SKIP_2) | instid1(VALU_DEP_4)
	v_pk_add_f32 v[6:7], v[10:11], v[4:5]
	v_cndmask_b32_e32 v9, v9, v21, vcc_lo
	v_cmp_lt_f32_e32 vcc_lo, v19, v8
	v_dual_add_f32 v1, v14, v1 :: v_dual_add_f32 v2, v12, v2
	s_delay_alu instid0(VALU_DEP_4) | instskip(NEXT) | instid1(VALU_DEP_2)
	v_mov_b64_e32 v[12:13], v[6:7]
	v_dual_cndmask_b32 v8, v8, v19, vcc_lo :: v_dual_mov_b32 v14, v1
	s_delay_alu instid0(VALU_DEP_3)
	v_mov_b64_e32 v[10:11], v[2:3]
.LBB27_69:
	s_or_b32 exec_lo, exec_lo, s6
	v_cmp_gt_u32_e32 vcc_lo, 28, v20
	s_mov_b32 s6, exec_lo
	s_wait_dscnt 0x1
	v_cndmask_b32_e64 v4, 0, 4, vcc_lo
	s_delay_alu instid0(VALU_DEP_1)
	v_add_lshl_u32 v15, v4, v20, 2
	ds_bpermute_b32 v17, v15, v3
	ds_bpermute_b32 v19, v15, v8
	ds_bpermute_b32 v21, v15, v9
	ds_bpermute_b32 v16, v15, v1
	ds_bpermute_b32 v5, v15, v6
	ds_bpermute_b32 v4, v15, v7
	s_wait_dscnt 0x6
	ds_bpermute_b32 v22, v15, v2
	v_add_nc_u32_e32 v15, 4, v20
	s_delay_alu instid0(VALU_DEP_1)
	v_cmpx_lt_u32_e64 v15, v18
	s_cbranch_execz .LBB27_71
; %bb.70:
	s_wait_dscnt 0x1
	v_dual_mov_b32 v15, v11 :: v_dual_mov_b32 v1, v4
	v_dual_mov_b32 v24, v11 :: v_dual_mov_b32 v25, v12
	v_mov_b32_e32 v27, v17
	s_delay_alu instid0(VALU_DEP_3) | instskip(SKIP_2) | instid1(VALU_DEP_3)
	v_pk_add_f32 v[6:7], v[16:17], v[14:15] neg_lo:[0,1] neg_hi:[0,1]
	v_pk_add_f32 v[2:3], v[14:15], v[16:17]
	v_dual_mov_b32 v26, v5 :: v_dual_mov_b32 v34, v17
	v_dual_mul_f32 v16, v11, v5 :: v_dual_mov_b32 v2, v6
	v_mul_f32_e32 v38, v6, v17
	v_pk_add_f32 v[36:37], v[12:13], v[0:1]
	v_sub_f32_e32 v23, v11, v17
	s_delay_alu instid0(VALU_DEP_4) | instskip(SKIP_4) | instid1(VALU_DEP_3)
	v_pk_fma_f32 v[24:25], v[24:25], v[26:27], v[16:17] op_sel_hi:[1,1,0] neg_lo:[1,0,0] neg_hi:[1,0,0]
	v_pk_mul_f32 v[30:31], v[2:3], v[2:3]
	v_div_scale_f32 v39, null, v3, v3, v38
	s_wait_dscnt 0x0
	v_dual_add_f32 v15, v10, v22 :: v_dual_mov_b32 v10, v17
	v_pk_mul_f32 v[32:33], v[2:3], v[30:31]
	v_dual_mov_b32 v22, v11 :: v_dual_mov_b32 v29, 0x40400000
	v_mov_b32_e32 v28, v11
	v_div_scale_f32 v41, vcc_lo, v38, v3, v38
	s_delay_alu instid0(VALU_DEP_4) | instskip(SKIP_3) | instid1(VALU_DEP_3)
	v_dual_mul_f32 v1, v11, v32 :: v_dual_mov_b32 v2, v11
	v_pk_mul_f32 v[26:27], v[6:7], v[32:33]
	v_mov_b32_e32 v27, v3
	v_rcp_f32_e32 v7, v39
	v_dual_mul_f32 v1, v1, v17 :: v_dual_mov_b32 v36, v12
	v_pk_mul_f32 v[32:33], v[10:11], v[10:11]
	s_delay_alu instid0(VALU_DEP_3) | instskip(NEXT) | instid1(VALU_DEP_3)
	v_pk_mul_f32 v[26:27], v[2:3], v[26:27]
	v_dual_mov_b32 v24, v17 :: v_dual_mul_f32 v1, v23, v1
	s_delay_alu instid0(TRANS32_DEP_1) | instskip(NEXT) | instid1(VALU_DEP_4)
	v_fma_f32 v16, -v39, v7, 1.0
	v_dual_mov_b32 v31, v6 :: v_dual_fma_f32 v2, -v11, v17, v33
	v_dual_mov_b32 v23, v33 :: v_dual_mov_b32 v35, v32
	s_delay_alu instid0(VALU_DEP_4) | instskip(NEXT) | instid1(VALU_DEP_4)
	v_div_scale_f32 v40, null, v27, v27, v1
	v_fmac_f32_e32 v7, v16, v7
	s_delay_alu instid0(VALU_DEP_4) | instskip(SKIP_1) | instid1(VALU_DEP_4)
	v_pk_mul_f32 v[10:11], v[28:29], v[30:31]
	v_add_f32_e32 v32, v32, v2
	v_rcp_f32_e32 v31, v40
	v_div_scale_f32 v43, s0, v1, v27, v1
	v_mul_f32_e32 v33, v41, v7
	v_pk_mul_f32 v[10:11], v[10:11], v[24:25]
	v_pk_mul_f32 v[12:13], v[12:13], v[34:35] op_sel:[1,0] op_sel_hi:[0,1]
	v_mov_b64_e32 v[28:29], 0x40c0000040800000
	s_delay_alu instid0(TRANS32_DEP_1) | instskip(SKIP_3) | instid1(VALU_DEP_4)
	v_fma_f32 v2, -v40, v31, 1.0
	v_fma_f32 v16, -v39, v33, v41
	v_div_scale_f32 v42, null, v3, v3, v11
	v_pk_fma_f32 v[24:25], v[22:23], v[4:5], v[12:13]
	v_dual_fmac_f32 v31, v2, v31 :: v_dual_mov_b32 v2, v17
	s_delay_alu instid0(VALU_DEP_4) | instskip(NEXT) | instid1(VALU_DEP_4)
	v_fmac_f32_e32 v33, v16, v7
	v_rcp_f32_e32 v34, v42
	v_pk_fma_f32 v[12:13], v[22:23], v[4:5], v[12:13] neg_lo:[0,0,1] neg_hi:[0,0,1]
	v_div_scale_f32 v44, null, v3, v3, v10
	v_pk_mul_f32 v[16:17], v[26:27], v[2:3]
	v_mul_f32_e32 v35, v43, v31
	s_delay_alu instid0(TRANS32_DEP_1) | instskip(NEXT) | instid1(VALU_DEP_4)
	v_fma_f32 v2, -v42, v34, 1.0
	v_rcp_f32_e32 v24, v44
	s_delay_alu instid0(VALU_DEP_3) | instskip(NEXT) | instid1(VALU_DEP_2)
	v_dual_mul_f32 v16, v32, v16 :: v_dual_fma_f32 v26, -v39, v33, v41
	v_dual_fma_f32 v39, -v40, v35, v43 :: v_dual_fmac_f32 v34, v2, v34
	s_delay_alu instid0(VALU_DEP_2) | instskip(NEXT) | instid1(VALU_DEP_3)
	v_div_scale_f32 v22, null, v17, v17, v16
	v_div_fmas_f32 v7, v26, v7, v33
	s_delay_alu instid0(VALU_DEP_3) | instskip(NEXT) | instid1(TRANS32_DEP_1)
	v_fmac_f32_e32 v35, v39, v31
	v_fma_f32 v32, -v44, v24, 1.0
	s_mov_b32 vcc_lo, s0
	s_delay_alu instid0(VALU_DEP_3) | instskip(NEXT) | instid1(VALU_DEP_3)
	v_div_fixup_f32 v2, v7, v3, v38
	v_dual_fma_f32 v26, -v40, v35, v43 :: v_dual_mov_b32 v7, v30
	v_div_scale_f32 v30, s1, v11, v3, v11
	v_mov_b32_e32 v13, v25
	s_delay_alu instid0(VALU_DEP_3) | instskip(NEXT) | instid1(VALU_DEP_4)
	v_div_fmas_f32 v25, v26, v31, v35
	v_pk_mul_f32 v[6:7], v[6:7], v[28:29]
	s_delay_alu instid0(VALU_DEP_4) | instskip(SKIP_1) | instid1(VALU_DEP_2)
	v_mul_f32_e32 v4, v30, v34
	s_mov_b32 vcc_lo, s1
	v_pk_mul_f32 v[6:7], v[6:7], v[12:13]
	v_rcp_f32_e32 v13, v22
	v_div_scale_f32 v12, s2, v10, v3, v10
	s_delay_alu instid0(VALU_DEP_2) | instskip(NEXT) | instid1(TRANS32_DEP_1)
	v_div_scale_f32 v23, null, v27, v27, v7
	v_fma_f32 v28, -v22, v13, 1.0
	v_fma_f32 v26, -v42, v4, v30
	s_delay_alu instid0(VALU_DEP_3) | instskip(NEXT) | instid1(VALU_DEP_2)
	v_rcp_f32_e32 v29, v23
	v_fmac_f32_e32 v13, v28, v13
	v_div_scale_f32 v28, s0, v16, v17, v16
	s_delay_alu instid0(VALU_DEP_3) | instskip(NEXT) | instid1(TRANS32_DEP_1)
	v_fmac_f32_e32 v4, v26, v34
	v_fma_f32 v33, -v23, v29, 1.0
	v_fmac_f32_e32 v24, v32, v24
	v_div_scale_f32 v32, null, v3, v3, v6
	s_delay_alu instid0(VALU_DEP_3) | instskip(NEXT) | instid1(VALU_DEP_3)
	v_dual_fma_f32 v30, -v42, v4, v30 :: v_dual_fmac_f32 v29, v33, v29
	v_mul_f32_e32 v31, v12, v24
	s_delay_alu instid0(VALU_DEP_3) | instskip(SKIP_1) | instid1(VALU_DEP_3)
	v_rcp_f32_e32 v35, v32
	v_div_scale_f32 v33, s3, v7, v27, v7
	v_div_fmas_f32 v30, v30, v34, v4
	s_delay_alu instid0(VALU_DEP_3) | instskip(SKIP_1) | instid1(VALU_DEP_4)
	v_fma_f32 v26, -v44, v31, v12
	v_mul_f32_e32 v38, v28, v13
	v_mul_f32_e32 v40, v33, v29
	s_delay_alu instid0(TRANS32_DEP_1)
	v_fma_f32 v39, -v32, v35, 1.0
	s_mov_b32 vcc_lo, s2
	v_fmac_f32_e32 v31, v26, v24
	v_fma_f32 v26, -v22, v38, v28
	v_div_fixup_f32 v11, v30, v3, v11
	v_fmac_f32_e32 v35, v39, v35
	v_div_scale_f32 v39, s4, v6, v3, v6
	v_dual_fma_f32 v4, -v44, v31, v12 :: v_dual_fma_f32 v12, -v23, v40, v33
	s_delay_alu instid0(VALU_DEP_2) | instskip(NEXT) | instid1(VALU_DEP_2)
	v_dual_fmac_f32 v38, v26, v13 :: v_dual_mul_f32 v26, v39, v35
	v_div_fmas_f32 v24, v4, v24, v31
	s_mov_b32 vcc_lo, s0
	s_delay_alu instid0(VALU_DEP_2) | instskip(NEXT) | instid1(VALU_DEP_3)
	v_fma_f32 v4, -v22, v38, v28
	v_fma_f32 v22, -v32, v26, v39
	v_dual_fmac_f32 v40, v12, v29 :: v_dual_mov_b32 v12, v5
	v_div_fixup_f32 v10, v24, v3, v10
	s_delay_alu instid0(VALU_DEP_4) | instskip(NEXT) | instid1(VALU_DEP_4)
	v_div_fmas_f32 v4, v4, v13, v38
	v_fmac_f32_e32 v26, v22, v35
	v_div_fixup_f32 v13, v25, v27, v1
	v_fma_f32 v1, -v23, v40, v33
	s_mov_b32 vcc_lo, s3
	v_div_fixup_f32 v4, v4, v17, v16
	v_fma_f32 v5, -v32, v26, v39
	s_delay_alu instid0(VALU_DEP_3) | instskip(SKIP_1) | instid1(VALU_DEP_2)
	v_div_fmas_f32 v1, v1, v29, v40
	s_mov_b32 vcc_lo, s4
	v_div_fmas_f32 v16, v5, v35, v26
	v_cmp_lt_f32_e32 vcc_lo, v9, v21
	v_add_f32_e32 v15, v15, v4
	v_div_fixup_f32 v1, v1, v27, v7
	v_pk_add_f32 v[4:5], v[36:37], v[12:13]
	v_div_fixup_f32 v12, v16, v3, v6
	v_cndmask_b32_e32 v9, v9, v21, vcc_lo
	v_cmp_lt_f32_e32 vcc_lo, v19, v8
	v_dual_add_f32 v13, v1, v15 :: v_dual_add_f32 v1, v14, v2
	v_pk_add_f32 v[6:7], v[10:11], v[4:5]
	v_cndmask_b32_e32 v8, v8, v19, vcc_lo
	s_delay_alu instid0(VALU_DEP_3) | instskip(NEXT) | instid1(VALU_DEP_3)
	v_dual_add_f32 v2, v12, v13 :: v_dual_mov_b32 v14, v1
	v_mov_b64_e32 v[12:13], v[6:7]
	s_delay_alu instid0(VALU_DEP_2)
	v_mov_b64_e32 v[10:11], v[2:3]
.LBB27_71:
	s_or_b32 exec_lo, exec_lo, s6
	v_cmp_gt_u32_e32 vcc_lo, 24, v20
	s_mov_b32 s6, exec_lo
	s_wait_dscnt 0x1
	v_cndmask_b32_e64 v4, 0, 8, vcc_lo
	s_delay_alu instid0(VALU_DEP_1)
	v_add_lshl_u32 v15, v4, v20, 2
	ds_bpermute_b32 v17, v15, v3
	ds_bpermute_b32 v19, v15, v8
	;; [unrolled: 1-line block ×6, first 2 shown]
	s_wait_dscnt 0x6
	ds_bpermute_b32 v22, v15, v2
	v_add_nc_u32_e32 v15, 8, v20
	s_delay_alu instid0(VALU_DEP_1)
	v_cmpx_lt_u32_e64 v15, v18
	s_cbranch_execz .LBB27_73
; %bb.72:
	s_wait_dscnt 0x1
	v_dual_mov_b32 v15, v11 :: v_dual_mov_b32 v1, v4
	v_dual_mov_b32 v24, v11 :: v_dual_mov_b32 v25, v12
	v_mov_b32_e32 v27, v17
	s_delay_alu instid0(VALU_DEP_3) | instskip(SKIP_2) | instid1(VALU_DEP_3)
	v_pk_add_f32 v[6:7], v[16:17], v[14:15] neg_lo:[0,1] neg_hi:[0,1]
	v_pk_add_f32 v[2:3], v[14:15], v[16:17]
	v_dual_mov_b32 v26, v5 :: v_dual_mov_b32 v34, v17
	v_dual_mul_f32 v16, v11, v5 :: v_dual_mov_b32 v2, v6
	v_mul_f32_e32 v38, v6, v17
	v_pk_add_f32 v[36:37], v[12:13], v[0:1]
	v_sub_f32_e32 v23, v11, v17
	s_delay_alu instid0(VALU_DEP_4) | instskip(SKIP_4) | instid1(VALU_DEP_3)
	v_pk_fma_f32 v[24:25], v[24:25], v[26:27], v[16:17] op_sel_hi:[1,1,0] neg_lo:[1,0,0] neg_hi:[1,0,0]
	v_pk_mul_f32 v[30:31], v[2:3], v[2:3]
	v_div_scale_f32 v39, null, v3, v3, v38
	s_wait_dscnt 0x0
	v_dual_add_f32 v15, v10, v22 :: v_dual_mov_b32 v10, v17
	v_pk_mul_f32 v[32:33], v[2:3], v[30:31]
	v_dual_mov_b32 v22, v11 :: v_dual_mov_b32 v29, 0x40400000
	v_mov_b32_e32 v28, v11
	v_div_scale_f32 v41, vcc_lo, v38, v3, v38
	s_delay_alu instid0(VALU_DEP_4) | instskip(SKIP_3) | instid1(VALU_DEP_3)
	v_dual_mul_f32 v1, v11, v32 :: v_dual_mov_b32 v2, v11
	v_pk_mul_f32 v[26:27], v[6:7], v[32:33]
	v_mov_b32_e32 v27, v3
	v_rcp_f32_e32 v7, v39
	v_dual_mul_f32 v1, v1, v17 :: v_dual_mov_b32 v36, v12
	v_pk_mul_f32 v[32:33], v[10:11], v[10:11]
	s_delay_alu instid0(VALU_DEP_3) | instskip(NEXT) | instid1(VALU_DEP_3)
	v_pk_mul_f32 v[26:27], v[2:3], v[26:27]
	v_dual_mov_b32 v24, v17 :: v_dual_mul_f32 v1, v23, v1
	s_delay_alu instid0(TRANS32_DEP_1) | instskip(NEXT) | instid1(VALU_DEP_4)
	v_fma_f32 v16, -v39, v7, 1.0
	v_dual_mov_b32 v31, v6 :: v_dual_fma_f32 v2, -v11, v17, v33
	v_dual_mov_b32 v23, v33 :: v_dual_mov_b32 v35, v32
	s_delay_alu instid0(VALU_DEP_4) | instskip(NEXT) | instid1(VALU_DEP_4)
	v_div_scale_f32 v40, null, v27, v27, v1
	v_fmac_f32_e32 v7, v16, v7
	s_delay_alu instid0(VALU_DEP_4) | instskip(SKIP_1) | instid1(VALU_DEP_4)
	v_pk_mul_f32 v[10:11], v[28:29], v[30:31]
	v_add_f32_e32 v32, v32, v2
	v_rcp_f32_e32 v31, v40
	v_div_scale_f32 v43, s0, v1, v27, v1
	v_mul_f32_e32 v33, v41, v7
	v_pk_mul_f32 v[10:11], v[10:11], v[24:25]
	v_pk_mul_f32 v[12:13], v[12:13], v[34:35] op_sel:[1,0] op_sel_hi:[0,1]
	v_mov_b64_e32 v[28:29], 0x40c0000040800000
	s_delay_alu instid0(TRANS32_DEP_1) | instskip(SKIP_3) | instid1(VALU_DEP_4)
	v_fma_f32 v2, -v40, v31, 1.0
	v_fma_f32 v16, -v39, v33, v41
	v_div_scale_f32 v42, null, v3, v3, v11
	v_pk_fma_f32 v[24:25], v[22:23], v[4:5], v[12:13]
	v_dual_fmac_f32 v31, v2, v31 :: v_dual_mov_b32 v2, v17
	s_delay_alu instid0(VALU_DEP_4) | instskip(NEXT) | instid1(VALU_DEP_4)
	v_fmac_f32_e32 v33, v16, v7
	v_rcp_f32_e32 v34, v42
	v_pk_fma_f32 v[12:13], v[22:23], v[4:5], v[12:13] neg_lo:[0,0,1] neg_hi:[0,0,1]
	v_div_scale_f32 v44, null, v3, v3, v10
	v_pk_mul_f32 v[16:17], v[26:27], v[2:3]
	v_mul_f32_e32 v35, v43, v31
	s_delay_alu instid0(TRANS32_DEP_1) | instskip(NEXT) | instid1(VALU_DEP_4)
	v_fma_f32 v2, -v42, v34, 1.0
	v_rcp_f32_e32 v24, v44
	s_delay_alu instid0(VALU_DEP_3) | instskip(NEXT) | instid1(VALU_DEP_2)
	v_dual_mul_f32 v16, v32, v16 :: v_dual_fma_f32 v26, -v39, v33, v41
	v_dual_fma_f32 v39, -v40, v35, v43 :: v_dual_fmac_f32 v34, v2, v34
	s_delay_alu instid0(VALU_DEP_2) | instskip(NEXT) | instid1(VALU_DEP_3)
	v_div_scale_f32 v22, null, v17, v17, v16
	v_div_fmas_f32 v7, v26, v7, v33
	s_delay_alu instid0(VALU_DEP_3) | instskip(NEXT) | instid1(TRANS32_DEP_1)
	v_fmac_f32_e32 v35, v39, v31
	v_fma_f32 v32, -v44, v24, 1.0
	s_mov_b32 vcc_lo, s0
	s_delay_alu instid0(VALU_DEP_3) | instskip(NEXT) | instid1(VALU_DEP_3)
	v_div_fixup_f32 v2, v7, v3, v38
	v_dual_fma_f32 v26, -v40, v35, v43 :: v_dual_mov_b32 v7, v30
	v_div_scale_f32 v30, s1, v11, v3, v11
	v_mov_b32_e32 v13, v25
	s_delay_alu instid0(VALU_DEP_3) | instskip(NEXT) | instid1(VALU_DEP_4)
	v_div_fmas_f32 v25, v26, v31, v35
	v_pk_mul_f32 v[6:7], v[6:7], v[28:29]
	s_delay_alu instid0(VALU_DEP_4) | instskip(SKIP_1) | instid1(VALU_DEP_2)
	v_mul_f32_e32 v4, v30, v34
	s_mov_b32 vcc_lo, s1
	v_pk_mul_f32 v[6:7], v[6:7], v[12:13]
	v_rcp_f32_e32 v13, v22
	v_div_scale_f32 v12, s2, v10, v3, v10
	s_delay_alu instid0(VALU_DEP_2) | instskip(NEXT) | instid1(TRANS32_DEP_1)
	v_div_scale_f32 v23, null, v27, v27, v7
	v_fma_f32 v28, -v22, v13, 1.0
	v_fma_f32 v26, -v42, v4, v30
	s_delay_alu instid0(VALU_DEP_3) | instskip(NEXT) | instid1(VALU_DEP_2)
	v_rcp_f32_e32 v29, v23
	v_fmac_f32_e32 v13, v28, v13
	v_div_scale_f32 v28, s0, v16, v17, v16
	s_delay_alu instid0(VALU_DEP_3) | instskip(NEXT) | instid1(TRANS32_DEP_1)
	v_fmac_f32_e32 v4, v26, v34
	v_fma_f32 v33, -v23, v29, 1.0
	v_fmac_f32_e32 v24, v32, v24
	v_div_scale_f32 v32, null, v3, v3, v6
	s_delay_alu instid0(VALU_DEP_3) | instskip(NEXT) | instid1(VALU_DEP_3)
	v_dual_fma_f32 v30, -v42, v4, v30 :: v_dual_fmac_f32 v29, v33, v29
	v_mul_f32_e32 v31, v12, v24
	s_delay_alu instid0(VALU_DEP_3) | instskip(SKIP_1) | instid1(VALU_DEP_3)
	v_rcp_f32_e32 v35, v32
	v_div_scale_f32 v33, s3, v7, v27, v7
	v_div_fmas_f32 v30, v30, v34, v4
	s_delay_alu instid0(VALU_DEP_3) | instskip(SKIP_1) | instid1(VALU_DEP_4)
	v_fma_f32 v26, -v44, v31, v12
	v_mul_f32_e32 v38, v28, v13
	v_mul_f32_e32 v40, v33, v29
	s_delay_alu instid0(TRANS32_DEP_1)
	v_fma_f32 v39, -v32, v35, 1.0
	s_mov_b32 vcc_lo, s2
	v_fmac_f32_e32 v31, v26, v24
	v_fma_f32 v26, -v22, v38, v28
	v_div_fixup_f32 v11, v30, v3, v11
	v_fmac_f32_e32 v35, v39, v35
	v_div_scale_f32 v39, s4, v6, v3, v6
	v_dual_fma_f32 v4, -v44, v31, v12 :: v_dual_fma_f32 v12, -v23, v40, v33
	s_delay_alu instid0(VALU_DEP_2) | instskip(NEXT) | instid1(VALU_DEP_2)
	v_dual_fmac_f32 v38, v26, v13 :: v_dual_mul_f32 v26, v39, v35
	v_div_fmas_f32 v24, v4, v24, v31
	s_mov_b32 vcc_lo, s0
	s_delay_alu instid0(VALU_DEP_2) | instskip(NEXT) | instid1(VALU_DEP_3)
	v_fma_f32 v4, -v22, v38, v28
	v_fma_f32 v22, -v32, v26, v39
	v_dual_fmac_f32 v40, v12, v29 :: v_dual_mov_b32 v12, v5
	v_div_fixup_f32 v10, v24, v3, v10
	s_delay_alu instid0(VALU_DEP_4) | instskip(NEXT) | instid1(VALU_DEP_4)
	v_div_fmas_f32 v4, v4, v13, v38
	v_fmac_f32_e32 v26, v22, v35
	v_div_fixup_f32 v13, v25, v27, v1
	v_fma_f32 v1, -v23, v40, v33
	s_mov_b32 vcc_lo, s3
	v_div_fixup_f32 v4, v4, v17, v16
	v_fma_f32 v5, -v32, v26, v39
	s_delay_alu instid0(VALU_DEP_3) | instskip(SKIP_1) | instid1(VALU_DEP_2)
	v_div_fmas_f32 v1, v1, v29, v40
	s_mov_b32 vcc_lo, s4
	v_div_fmas_f32 v16, v5, v35, v26
	v_cmp_lt_f32_e32 vcc_lo, v9, v21
	v_add_f32_e32 v15, v15, v4
	v_div_fixup_f32 v1, v1, v27, v7
	v_pk_add_f32 v[4:5], v[36:37], v[12:13]
	v_div_fixup_f32 v12, v16, v3, v6
	v_cndmask_b32_e32 v9, v9, v21, vcc_lo
	v_cmp_lt_f32_e32 vcc_lo, v19, v8
	v_dual_add_f32 v13, v1, v15 :: v_dual_add_f32 v1, v14, v2
	v_pk_add_f32 v[6:7], v[10:11], v[4:5]
	v_cndmask_b32_e32 v8, v8, v19, vcc_lo
	s_delay_alu instid0(VALU_DEP_3) | instskip(NEXT) | instid1(VALU_DEP_3)
	v_dual_add_f32 v2, v12, v13 :: v_dual_mov_b32 v14, v1
	v_mov_b64_e32 v[12:13], v[6:7]
	s_delay_alu instid0(VALU_DEP_2)
	v_mov_b64_e32 v[10:11], v[2:3]
.LBB27_73:
	s_or_b32 exec_lo, exec_lo, s6
	s_wait_dscnt 0x4
	v_lshlrev_b32_e32 v21, 2, v20
	s_mov_b32 s6, exec_lo
	s_delay_alu instid0(VALU_DEP_1)
	v_or_b32_e32 v15, 64, v21
	ds_bpermute_b32 v17, v15, v3
	ds_bpermute_b32 v3, v15, v8
	;; [unrolled: 1-line block ×3, first 2 shown]
	s_wait_dscnt 0x6
	ds_bpermute_b32 v16, v15, v1
	s_wait_dscnt 0x6
	ds_bpermute_b32 v5, v15, v6
	;; [unrolled: 2-line block ×3, first 2 shown]
	ds_bpermute_b32 v1, v15, v2
	v_add_nc_u32_e32 v2, 16, v20
	s_delay_alu instid0(VALU_DEP_1)
	v_cmpx_lt_u32_e64 v2, v18
	s_cbranch_execz .LBB27_75
; %bb.74:
	s_wait_dscnt 0x1
	v_dual_mov_b32 v15, v11 :: v_dual_mov_b32 v7, v4
	v_dual_mov_b32 v22, v11 :: v_dual_mov_b32 v23, v12
	v_dual_mov_b32 v26, v5 :: v_dual_mov_b32 v27, v17
	s_delay_alu instid0(VALU_DEP_3) | instskip(SKIP_2) | instid1(VALU_DEP_3)
	v_pk_add_f32 v[24:25], v[16:17], v[14:15] neg_lo:[0,1] neg_hi:[0,1]
	v_pk_add_f32 v[28:29], v[14:15], v[16:17]
	v_dual_sub_f32 v15, v11, v17 :: v_dual_mov_b32 v6, v11
	v_dual_mul_f32 v2, v11, v5 :: v_dual_mov_b32 v28, v24
	s_wait_dscnt 0x0
	v_dual_add_f32 v1, v10, v1 :: v_dual_mov_b32 v10, v17
	v_dual_mov_b32 v31, 0x40400000 :: v_dual_mov_b32 v30, v11
	s_delay_alu instid0(VALU_DEP_3) | instskip(SKIP_1) | instid1(VALU_DEP_4)
	v_pk_mul_f32 v[32:33], v[28:29], v[28:29]
	v_pk_fma_f32 v[22:23], v[22:23], v[26:27], v[2:3] op_sel_hi:[1,1,0] neg_lo:[1,0,0] neg_hi:[1,0,0]
	v_pk_mul_f32 v[26:27], v[10:11], v[10:11]
	v_mov_b32_e32 v34, v17
	v_pk_add_f32 v[38:39], v[12:13], v[6:7]
	v_pk_mul_f32 v[36:37], v[28:29], v[32:33]
	v_dual_mov_b32 v28, v11 :: v_dual_mov_b32 v38, v12
	v_dual_mul_f32 v18, v24, v17 :: v_dual_mov_b32 v22, v17
	s_delay_alu instid0(VALU_DEP_3) | instskip(NEXT) | instid1(VALU_DEP_4)
	v_mul_f32_e32 v2, v11, v36
	v_pk_mul_f32 v[36:37], v[24:25], v[36:37]
	v_mov_b32_e32 v37, v29
	s_delay_alu instid0(VALU_DEP_4) | instskip(NEXT) | instid1(VALU_DEP_4)
	v_div_scale_f32 v25, null, v29, v29, v18
	v_dual_mul_f32 v2, v2, v17 :: v_dual_mov_b32 v33, v24
	s_delay_alu instid0(VALU_DEP_3) | instskip(NEXT) | instid1(VALU_DEP_3)
	v_pk_mul_f32 v[36:37], v[28:29], v[36:37]
	v_rcp_f32_e32 v40, v25
	s_delay_alu instid0(VALU_DEP_2) | instskip(SKIP_3) | instid1(VALU_DEP_4)
	v_dual_mov_b32 v35, v26 :: v_dual_mul_f32 v2, v15, v2
	v_fma_f32 v15, -v11, v17, v27
	v_mov_b32_e32 v7, v27
	v_pk_mul_f32 v[10:11], v[30:31], v[32:33]
	v_pk_mul_f32 v[12:13], v[12:13], v[34:35] op_sel:[1,0] op_sel_hi:[0,1]
	v_div_scale_f32 v41, null, v37, v37, v2
	v_fma_f32 v16, -v25, v40, 1.0
	v_add_f32_e32 v15, v26, v15
	v_pk_mul_f32 v[10:11], v[10:11], v[22:23]
	s_delay_alu instid0(VALU_DEP_4) | instskip(SKIP_2) | instid1(VALU_DEP_3)
	v_rcp_f32_e32 v30, v41
	v_div_scale_f32 v26, vcc_lo, v18, v29, v18
	v_fmac_f32_e32 v40, v16, v40
	v_div_scale_f32 v31, null, v29, v29, v11
	v_pk_fma_f32 v[22:23], v[6:7], v[4:5], v[12:13]
	s_delay_alu instid0(TRANS32_DEP_1) | instskip(SKIP_1) | instid1(VALU_DEP_4)
	v_fma_f32 v16, -v41, v30, 1.0
	v_div_scale_f32 v34, s0, v2, v37, v2
	v_rcp_f32_e32 v22, v31
	s_delay_alu instid0(VALU_DEP_2) | instskip(SKIP_2) | instid1(VALU_DEP_3)
	v_dual_mov_b32 v28, v17 :: v_dual_fmac_f32 v30, v16, v30
	v_mul_f32_e32 v33, v26, v40
	v_div_scale_f32 v42, null, v29, v29, v10
	v_pk_mul_f32 v[16:17], v[36:37], v[28:29]
	s_delay_alu instid0(VALU_DEP_3) | instskip(SKIP_1) | instid1(VALU_DEP_4)
	v_dual_mul_f32 v35, v34, v30 :: v_dual_fma_f32 v27, -v25, v33, v26
	v_pk_fma_f32 v[6:7], v[6:7], v[4:5], v[12:13] neg_lo:[0,0,1] neg_hi:[0,0,1]
	v_rcp_f32_e32 v36, v42
	s_delay_alu instid0(VALU_DEP_2) | instskip(NEXT) | instid1(VALU_DEP_3)
	v_dual_mov_b32 v7, v23 :: v_dual_fma_f32 v28, -v41, v35, v34
	v_fmac_f32_e32 v33, v27, v40
	v_fma_f32 v27, -v31, v22, 1.0
	s_delay_alu instid0(VALU_DEP_3) | instskip(NEXT) | instid1(VALU_DEP_3)
	v_dual_mul_f32 v15, v15, v16 :: v_dual_fmac_f32 v35, v28, v30
	v_fma_f32 v16, -v25, v33, v26
	s_delay_alu instid0(VALU_DEP_3) | instskip(SKIP_1) | instid1(VALU_DEP_4)
	v_dual_fmac_f32 v22, v27, v22 :: v_dual_mov_b32 v25, v32
	v_mov_b64_e32 v[26:27], 0x40c0000040800000
	v_div_scale_f32 v23, null, v17, v17, v15
	s_delay_alu instid0(VALU_DEP_4)
	v_div_fmas_f32 v16, v16, v40, v33
	v_fma_f32 v33, -v42, v36, 1.0
	v_div_scale_f32 v32, s1, v11, v29, v11
	v_pk_mul_f32 v[12:13], v[24:25], v[26:27]
	v_fma_f32 v28, -v41, v35, v34
	s_mov_b32 vcc_lo, s0
	s_delay_alu instid0(VALU_DEP_3) | instskip(NEXT) | instid1(VALU_DEP_3)
	v_mul_f32_e32 v4, v32, v22
	v_pk_mul_f32 v[6:7], v[12:13], v[6:7]
	v_rcp_f32_e32 v13, v23
	v_div_scale_f32 v12, s2, v10, v29, v10
	v_div_fmas_f32 v25, v28, v30, v35
	s_delay_alu instid0(VALU_DEP_3) | instskip(SKIP_1) | instid1(TRANS32_DEP_1)
	v_div_scale_f32 v24, null, v37, v37, v7
	v_fma_f32 v26, -v31, v4, v32
	v_fma_f32 v27, -v23, v13, 1.0
	v_fmac_f32_e32 v36, v33, v36
	v_div_scale_f32 v33, null, v29, v29, v6
	v_rcp_f32_e32 v28, v24
	s_delay_alu instid0(VALU_DEP_2) | instskip(SKIP_1) | instid1(VALU_DEP_3)
	v_dual_fmac_f32 v13, v27, v13 :: v_dual_mul_f32 v30, v12, v36
	v_fmac_f32_e32 v4, v26, v22
	v_rcp_f32_e32 v35, v33
	v_div_scale_f32 v27, s0, v15, v17, v15
	s_delay_alu instid0(TRANS32_DEP_2) | instskip(SKIP_2) | instid1(VALU_DEP_4)
	v_fma_f32 v34, -v24, v28, 1.0
	v_fma_f32 v26, -v42, v30, v12
	v_fma_f32 v31, -v31, v4, v32
	v_mul_f32_e32 v40, v27, v13
	s_delay_alu instid0(TRANS32_DEP_1)
	v_fma_f32 v41, -v33, v35, 1.0
	v_fmac_f32_e32 v28, v34, v28
	v_div_scale_f32 v34, s3, v7, v37, v7
	v_fmac_f32_e32 v30, v26, v36
	v_fma_f32 v26, -v23, v40, v27
	v_fmac_f32_e32 v35, v41, v35
	v_div_scale_f32 v41, s4, v6, v29, v6
	v_mul_f32_e32 v32, v34, v28
	s_mov_b32 vcc_lo, s1
	v_fmac_f32_e32 v40, v26, v13
	v_div_fmas_f32 v22, v31, v22, v4
	v_dual_fma_f32 v4, -v42, v30, v12 :: v_dual_mul_f32 v26, v41, v35
	v_fma_f32 v12, -v24, v32, v34
	s_mov_b32 vcc_lo, s2
	s_delay_alu instid0(VALU_DEP_3) | instskip(NEXT) | instid1(VALU_DEP_3)
	v_div_fixup_f32 v11, v22, v29, v11
	v_div_fmas_f32 v30, v4, v36, v30
	v_dual_fma_f32 v4, -v23, v40, v27 :: v_dual_fma_f32 v23, -v33, v26, v41
	v_dual_fmac_f32 v32, v12, v28 :: v_dual_mov_b32 v12, v5
	s_mov_b32 vcc_lo, s0
	s_delay_alu instid0(VALU_DEP_3) | instskip(NEXT) | instid1(VALU_DEP_3)
	v_div_fixup_f32 v10, v30, v29, v10
	v_fmac_f32_e32 v26, v23, v35
	v_div_fmas_f32 v4, v4, v13, v40
	v_div_fixup_f32 v13, v25, v37, v2
	v_fma_f32 v2, -v24, v32, v34
	s_mov_b32 vcc_lo, s3
	v_fma_f32 v5, -v33, v26, v41
	v_div_fixup_f32 v4, v4, v17, v15
	s_delay_alu instid0(VALU_DEP_3) | instskip(SKIP_1) | instid1(VALU_DEP_3)
	v_div_fmas_f32 v2, v2, v28, v32
	s_mov_b32 vcc_lo, s4
	v_div_fmas_f32 v15, v5, v35, v26
	v_cmp_lt_f32_e32 vcc_lo, v9, v19
	s_delay_alu instid0(VALU_DEP_3) | instskip(NEXT) | instid1(VALU_DEP_3)
	v_div_fixup_f32 v2, v2, v37, v7
	v_div_fixup_f32 v6, v15, v29, v6
	v_cndmask_b32_e32 v9, v9, v19, vcc_lo
	v_cmp_lt_f32_e32 vcc_lo, v3, v8
	v_add_f32_e32 v1, v1, v4
	v_pk_add_f32 v[4:5], v[38:39], v[12:13]
	s_delay_alu instid0(VALU_DEP_2) | instskip(SKIP_1) | instid1(VALU_DEP_3)
	v_dual_cndmask_b32 v8, v8, v3 :: v_dual_add_f32 v1, v2, v1
	v_div_fixup_f32 v2, v16, v29, v18
	v_pk_add_f32 v[12:13], v[10:11], v[4:5]
	s_delay_alu instid0(VALU_DEP_3) | instskip(NEXT) | instid1(VALU_DEP_3)
	v_add_f32_e32 v28, v6, v1
	v_add_f32_e32 v14, v14, v2
	s_delay_alu instid0(VALU_DEP_2)
	v_mov_b64_e32 v[10:11], v[28:29]
.LBB27_75:
	s_or_b32 exec_lo, exec_lo, s6
	s_delay_alu instid0(SALU_CYCLE_1)
	s_mov_b32 s0, exec_lo
	v_cmpx_eq_u32_e32 0, v20
	s_cbranch_execz .LBB27_77
; %bb.76:
	s_wait_dscnt 0x0
	v_lshrrev_b32_e32 v1, 5, v0
	s_delay_alu instid0(VALU_DEP_1)
	v_mul_u32_u24_e32 v1, 28, v1
	ds_store_2addr_b32 v1, v11, v8 offset1:1
	ds_store_2addr_b32 v1, v9, v14 offset0:2 offset1:3
	ds_store_2addr_b32 v1, v12, v13 offset0:4 offset1:5
	ds_store_b32 v1, v10 offset:24
.LBB27_77:
	s_or_b32 exec_lo, exec_lo, s0
	s_delay_alu instid0(SALU_CYCLE_1)
	s_mov_b32 s6, exec_lo
	s_wait_dscnt 0x0
	s_barrier_signal -1
	s_barrier_wait -1
	v_cmpx_gt_u32_e32 8, v0
	s_cbranch_execz .LBB27_85
; %bb.78:
	v_mul_u32_u24_e32 v4, 28, v20
	s_add_co_i32 s5, s5, 31
	ds_load_2addr_b32 v[2:3], v4 offset1:3
	ds_load_2addr_b32 v[8:9], v4 offset0:1 offset1:2
	v_and_b32_e32 v1, 7, v20
	ds_load_2addr_b32 v[12:13], v4 offset0:4 offset1:5
	ds_load_b32 v10, v4 offset:24
	s_lshr_b32 s5, s5, 5
	s_wait_dscnt 0x3
	v_mov_b32_e32 v11, v2
	v_cmp_ne_u32_e32 vcc_lo, 7, v1
	v_mov_b64_e32 v[16:17], v[2:3]
	s_wait_dscnt 0x1
	v_dual_mov_b32 v19, v13 :: v_dual_mov_b32 v18, v12
	v_add_co_ci_u32_e64 v4, null, 0, v20, vcc_lo
	s_delay_alu instid0(VALU_DEP_1)
	v_lshlrev_b32_e32 v4, 2, v4
	ds_bpermute_b32 v15, v4, v2
	ds_bpermute_b32 v22, v4, v8
	;; [unrolled: 1-line block ×6, first 2 shown]
	s_wait_dscnt 0x6
	ds_bpermute_b32 v24, v4, v10
	v_add_nc_u32_e32 v4, 1, v1
	s_delay_alu instid0(VALU_DEP_1)
	v_cmp_gt_u32_e32 vcc_lo, s5, v4
	v_mov_b64_e32 v[4:5], v[10:11]
	s_and_saveexec_b32 s7, vcc_lo
	s_cbranch_execz .LBB27_80
; %bb.79:
	v_dual_mov_b32 v4, v3 :: v_dual_mov_b32 v5, v2
	s_wait_dscnt 0x0
	v_add_f32_e32 v38, v10, v24
	v_dual_mov_b32 v17, v6 :: v_dual_mov_b32 v26, v2
	v_dual_sub_f32 v35, v2, v15 :: v_dual_mov_b32 v27, v12
	v_pk_add_f32 v[18:19], v[14:15], v[4:5] neg_lo:[0,1] neg_hi:[0,1]
	v_pk_add_f32 v[10:11], v[4:5], v[14:15]
	v_dual_mov_b32 v4, v7 :: v_dual_mov_b32 v5, v15
	s_delay_alu instid0(VALU_DEP_3) | instskip(SKIP_2) | instid1(VALU_DEP_3)
	v_dual_mov_b32 v16, v15 :: v_dual_mul_f32 v39, v18, v15
	v_mov_b32_e32 v10, v18
	v_dual_mul_f32 v14, v2, v7 :: v_dual_mov_b32 v29, 0x40400000
	v_pk_add_f32 v[36:37], v[12:13], v[16:17]
	s_delay_alu instid0(VALU_DEP_4) | instskip(NEXT) | instid1(VALU_DEP_4)
	v_div_scale_f32 v41, null, v11, v11, v39
	v_pk_mul_f32 v[24:25], v[10:11], v[10:11]
	v_dual_mov_b32 v32, v15 :: v_dual_mov_b32 v33, v2
	s_delay_alu instid0(VALU_DEP_3) | instskip(SKIP_1) | instid1(VALU_DEP_3)
	v_rcp_f32_e32 v42, v41
	v_dual_mov_b32 v28, v2 :: v_dual_mul_f32 v40, v2, v2
	v_pk_mul_f32 v[30:31], v[10:11], v[24:25]
	v_mov_b32_e32 v10, v2
	v_pk_fma_f32 v[4:5], v[26:27], v[4:5], v[14:15] op_sel_hi:[1,1,0] neg_lo:[1,0,0] neg_hi:[1,0,0]
	v_mov_b32_e32 v36, v12
	s_delay_alu instid0(TRANS32_DEP_1) | instskip(SKIP_3) | instid1(VALU_DEP_4)
	v_fma_f32 v17, -v41, v42, 1.0
	v_mul_f32_e32 v25, v2, v30
	v_pk_mul_f32 v[30:31], v[18:19], v[30:31]
	v_dual_mov_b32 v31, v11 :: v_dual_mov_b32 v34, v15
	v_fmac_f32_e32 v42, v17, v42
	s_delay_alu instid0(VALU_DEP_4) | instskip(NEXT) | instid1(VALU_DEP_3)
	v_dual_mul_f32 v19, v25, v15 :: v_dual_mov_b32 v25, v18
	v_pk_mul_f32 v[30:31], v[10:11], v[30:31]
	v_div_scale_f32 v10, vcc_lo, v39, v11, v39
	s_delay_alu instid0(VALU_DEP_3) | instskip(SKIP_2) | instid1(VALU_DEP_4)
	v_mul_f32_e32 v43, v35, v19
	v_pk_mul_f32 v[16:17], v[32:33], v[16:17] op_sel_hi:[1,0]
	v_pk_mul_f32 v[26:27], v[28:29], v[24:25]
	v_dual_mul_f32 v14, v10, v42 :: v_dual_mov_b32 v4, v15
	s_delay_alu instid0(VALU_DEP_4) | instskip(NEXT) | instid1(VALU_DEP_4)
	v_div_scale_f32 v19, null, v31, v31, v43
	v_dual_fma_f32 v17, v2, v2, -v17 :: v_dual_mov_b32 v35, v16
	s_delay_alu instid0(VALU_DEP_3) | instskip(NEXT) | instid1(VALU_DEP_3)
	v_fma_f32 v25, -v41, v14, v10
	v_rcp_f32_e32 v32, v19
	v_pk_mul_f32 v[4:5], v[26:27], v[4:5]
	s_delay_alu instid0(VALU_DEP_3) | instskip(NEXT) | instid1(VALU_DEP_2)
	v_pk_mul_f32 v[12:13], v[12:13], v[34:35] op_sel:[1,0] op_sel_hi:[0,1]
	v_div_scale_f32 v33, null, v11, v11, v5
	s_delay_alu instid0(TRANS32_DEP_1) | instskip(SKIP_2) | instid1(VALU_DEP_4)
	v_fma_f32 v28, -v19, v32, 1.0
	v_fmac_f32_e32 v14, v25, v42
	v_div_scale_f32 v25, s0, v43, v31, v43
	v_rcp_f32_e32 v34, v33
	s_delay_alu instid0(VALU_DEP_3) | instskip(NEXT) | instid1(VALU_DEP_3)
	v_fmac_f32_e32 v32, v28, v32
	v_dual_add_f32 v16, v16, v17 :: v_dual_fma_f32 v10, -v41, v14, v10
	v_mov_b64_e32 v[28:29], 0x40c0000040800000
	v_div_scale_f32 v35, null, v11, v11, v4
	s_delay_alu instid0(VALU_DEP_4) | instskip(NEXT) | instid1(VALU_DEP_4)
	v_mul_f32_e32 v41, v25, v32
	v_div_fmas_f32 v14, v10, v42, v14
	v_mov_b32_e32 v10, v15
	s_mov_b32 vcc_lo, s0
	s_delay_alu instid0(VALU_DEP_3) | instskip(NEXT) | instid1(VALU_DEP_3)
	v_fma_f32 v17, -v19, v41, v25
	v_div_fixup_f32 v26, v14, v11, v39
	s_delay_alu instid0(VALU_DEP_3) | instskip(SKIP_1) | instid1(VALU_DEP_3)
	v_pk_mul_f32 v[14:15], v[30:31], v[10:11]
	v_fma_f32 v10, -v33, v34, 1.0
	v_dual_fmac_f32 v41, v17, v32 :: v_dual_add_f32 v17, v3, v26
	v_mov_b32_e32 v3, v40
	s_delay_alu instid0(VALU_DEP_4) | instskip(NEXT) | instid1(VALU_DEP_3)
	v_mul_f32_e32 v14, v16, v14
	v_dual_fmac_f32 v34, v10, v34 :: v_dual_fma_f32 v16, -v19, v41, v25
	v_mov_b32_e32 v19, v24
	s_delay_alu instid0(VALU_DEP_4) | instskip(SKIP_2) | instid1(VALU_DEP_4)
	v_pk_fma_f32 v[26:27], v[2:3], v[6:7], v[12:13]
	v_pk_fma_f32 v[2:3], v[2:3], v[6:7], v[12:13] neg_lo:[0,0,1] neg_hi:[0,0,1]
	v_div_scale_f32 v10, s1, v5, v11, v5
	v_pk_mul_f32 v[12:13], v[18:19], v[28:29]
	s_delay_alu instid0(VALU_DEP_4) | instskip(SKIP_1) | instid1(VALU_DEP_3)
	v_mov_b32_e32 v3, v27
	v_rcp_f32_e32 v25, v35
	v_mul_f32_e32 v6, v10, v34
	v_div_scale_f32 v18, null, v15, v15, v14
	s_delay_alu instid0(VALU_DEP_3) | instskip(SKIP_1) | instid1(VALU_DEP_3)
	v_pk_mul_f32 v[2:3], v[12:13], v[2:3]
	v_div_scale_f32 v12, s2, v4, v11, v4
	v_rcp_f32_e32 v13, v18
	s_delay_alu instid0(TRANS32_DEP_2) | instskip(NEXT) | instid1(VALU_DEP_3)
	v_fma_f32 v24, -v35, v25, 1.0
	v_div_scale_f32 v19, null, v31, v31, v3
	v_div_scale_f32 v29, null, v11, v11, v2
	s_delay_alu instid0(VALU_DEP_3) | instskip(NEXT) | instid1(VALU_DEP_3)
	v_dual_fmac_f32 v25, v24, v25 :: v_dual_fma_f32 v24, -v33, v6, v10
	v_rcp_f32_e32 v27, v19
	s_delay_alu instid0(TRANS32_DEP_2)
	v_fma_f32 v26, -v18, v13, 1.0
	v_div_fmas_f32 v16, v16, v32, v41
	v_rcp_f32_e32 v32, v29
	v_fmac_f32_e32 v6, v24, v34
	s_mov_b32 vcc_lo, s1
	v_fmac_f32_e32 v13, v26, v13
	v_div_scale_f32 v26, s0, v14, v15, v14
	v_fma_f32 v30, -v19, v27, 1.0
	v_mul_f32_e32 v28, v12, v25
	v_fma_f32 v40, -v29, v32, 1.0
	s_delay_alu instid0(VALU_DEP_4) | instskip(NEXT) | instid1(VALU_DEP_3)
	v_mul_f32_e32 v39, v26, v13
	v_dual_fmac_f32 v27, v30, v27 :: v_dual_fma_f32 v24, -v35, v28, v12
	v_div_scale_f32 v30, s3, v3, v31, v3
	s_delay_alu instid0(VALU_DEP_4) | instskip(NEXT) | instid1(VALU_DEP_3)
	v_dual_fma_f32 v10, -v33, v6, v10 :: v_dual_fmac_f32 v32, v40, v32
	v_dual_fmac_f32 v28, v24, v25 :: v_dual_fma_f32 v24, -v18, v39, v26
	s_delay_alu instid0(VALU_DEP_3) | instskip(SKIP_1) | instid1(VALU_DEP_4)
	v_mul_f32_e32 v33, v30, v27
	v_div_scale_f32 v40, s4, v2, v11, v2
	v_div_fmas_f32 v10, v10, v34, v6
	s_delay_alu instid0(VALU_DEP_4) | instskip(NEXT) | instid1(VALU_DEP_3)
	v_dual_fma_f32 v6, -v35, v28, v12 :: v_dual_fmac_f32 v39, v24, v13
	v_dual_fma_f32 v12, -v19, v33, v30 :: v_dual_mul_f32 v24, v40, v32
	s_mov_b32 vcc_lo, s2
	s_delay_alu instid0(VALU_DEP_3) | instskip(NEXT) | instid1(VALU_DEP_3)
	v_div_fixup_f32 v5, v10, v11, v5
	v_div_fmas_f32 v25, v6, v25, v28
	s_delay_alu instid0(VALU_DEP_3) | instskip(SKIP_2) | instid1(VALU_DEP_3)
	v_dual_fma_f32 v6, -v18, v39, v26 :: v_dual_fma_f32 v18, -v29, v24, v40
	v_dual_fmac_f32 v33, v12, v27 :: v_dual_mov_b32 v12, v7
	s_mov_b32 vcc_lo, s0
	v_div_fixup_f32 v4, v25, v11, v4
	s_delay_alu instid0(VALU_DEP_3) | instskip(SKIP_4) | instid1(VALU_DEP_3)
	v_fmac_f32_e32 v24, v18, v32
	v_div_fmas_f32 v6, v6, v13, v39
	v_fma_f32 v7, -v19, v33, v30
	s_mov_b32 vcc_lo, s3
	v_div_fixup_f32 v13, v16, v31, v43
	v_div_fixup_f32 v6, v6, v15, v14
	v_fma_f32 v14, -v29, v24, v40
	v_div_fmas_f32 v7, v7, v27, v33
	s_mov_b32 vcc_lo, s4
	s_delay_alu instid0(VALU_DEP_2) | instskip(NEXT) | instid1(VALU_DEP_2)
	v_div_fmas_f32 v14, v14, v32, v24
	v_div_fixup_f32 v3, v7, v31, v3
	v_cmp_lt_f32_e32 vcc_lo, v9, v23
	v_add_f32_e32 v15, v38, v6
	v_pk_add_f32 v[6:7], v[36:37], v[12:13]
	v_div_fixup_f32 v2, v14, v11, v2
	v_cndmask_b32_e32 v9, v9, v23, vcc_lo
	v_cmp_lt_f32_e32 vcc_lo, v22, v8
	v_add_f32_e32 v3, v3, v15
	v_pk_add_f32 v[18:19], v[4:5], v[6:7]
	s_delay_alu instid0(VALU_DEP_2) | instskip(SKIP_1) | instid1(VALU_DEP_3)
	v_dual_cndmask_b32 v8, v8, v22, vcc_lo :: v_dual_add_f32 v10, v2, v3
	v_mov_b32_e32 v3, v17
	v_mov_b64_e32 v[12:13], v[18:19]
	v_mov_b32_e32 v2, v11
	s_delay_alu instid0(VALU_DEP_4)
	v_mov_b64_e32 v[4:5], v[10:11]
.LBB27_80:
	s_or_b32 exec_lo, exec_lo, s7
	v_cmp_gt_u32_e32 vcc_lo, 6, v1
	s_wait_dscnt 0x5
	v_add_nc_u32_e32 v22, 2, v1
	s_mov_b32 s7, exec_lo
	v_cndmask_b32_e64 v5, 0, 2, vcc_lo
	s_delay_alu instid0(VALU_DEP_1)
	v_add_lshl_u32 v5, v5, v20, 2
	ds_bpermute_b32 v15, v5, v2
	ds_bpermute_b32 v16, v5, v8
	;; [unrolled: 1-line block ×3, first 2 shown]
	s_wait_dscnt 0x6
	ds_bpermute_b32 v14, v5, v17
	s_wait_dscnt 0x6
	ds_bpermute_b32 v7, v5, v18
	;; [unrolled: 2-line block ×3, first 2 shown]
	ds_bpermute_b32 v5, v5, v4
	v_cmpx_gt_u32_e64 s5, v22
	s_cbranch_execz .LBB27_82
; %bb.81:
	s_wait_dscnt 0x0
	v_dual_add_f32 v38, v10, v5 :: v_dual_mov_b32 v10, v15
	v_dual_mov_b32 v22, v11 :: v_dual_mov_b32 v23, v12
	v_dual_mov_b32 v24, v7 :: v_dual_mov_b32 v25, v15
	s_delay_alu instid0(VALU_DEP_3) | instskip(SKIP_2) | instid1(VALU_DEP_3)
	v_pk_mul_f32 v[18:19], v[10:11], v[10:11]
	v_dual_mov_b32 v10, v3 :: v_dual_mov_b32 v17, v6
	v_dual_mul_f32 v2, v11, v7 :: v_dual_mov_b32 v29, 0x40400000
	v_mov_b32_e32 v31, v19
	s_delay_alu instid0(VALU_DEP_3) | instskip(SKIP_1) | instid1(VALU_DEP_4)
	v_pk_add_f32 v[26:27], v[14:15], v[10:11] neg_lo:[0,1] neg_hi:[0,1]
	v_pk_add_f32 v[4:5], v[10:11], v[14:15]
	v_pk_fma_f32 v[22:23], v[22:23], v[24:25], v[2:3] op_sel_hi:[1,1,0] neg_lo:[1,0,0] neg_hi:[1,0,0]
	v_mov_b32_e32 v28, v11
	v_pk_add_f32 v[36:37], v[12:13], v[16:17]
	v_dual_mov_b32 v4, v26 :: v_dual_mov_b32 v22, v15
	v_dual_mul_f32 v17, v26, v15 :: v_dual_fma_f32 v2, -v11, v15, v19
	v_mov_b32_e32 v33, v18
	s_delay_alu instid0(VALU_DEP_3) | instskip(SKIP_1) | instid1(VALU_DEP_4)
	v_pk_mul_f32 v[34:35], v[4:5], v[4:5]
	v_dual_sub_f32 v14, v11, v15 :: v_dual_mov_b32 v30, v11
	v_div_scale_f32 v39, null, v5, v5, v17
	s_delay_alu instid0(VALU_DEP_3) | instskip(SKIP_2) | instid1(VALU_DEP_4)
	v_pk_mul_f32 v[24:25], v[4:5], v[34:35]
	v_dual_mov_b32 v4, v11 :: v_dual_mov_b32 v32, v15
	v_mov_b32_e32 v36, v12
	v_rcp_f32_e32 v40, v39
	s_delay_alu instid0(VALU_DEP_3) | instskip(SKIP_3) | instid1(VALU_DEP_4)
	v_mul_f32_e32 v19, v11, v24
	v_pk_mul_f32 v[10:11], v[26:27], v[24:25]
	v_dual_mov_b32 v11, v5 :: v_dual_mov_b32 v35, v26
	v_pk_mul_f32 v[12:13], v[12:13], v[32:33] op_sel:[1,0] op_sel_hi:[0,1]
	v_mul_f32_e32 v19, v19, v15
	v_div_scale_f32 v27, vcc_lo, v17, v5, v17
	s_delay_alu instid0(VALU_DEP_4) | instskip(SKIP_1) | instid1(VALU_DEP_4)
	v_pk_mul_f32 v[10:11], v[4:5], v[10:11]
	v_fma_f32 v4, -v39, v40, 1.0
	v_mul_f32_e32 v41, v14, v19
	v_add_f32_e32 v2, v18, v2
	v_pk_mul_f32 v[18:19], v[28:29], v[34:35]
	v_pk_fma_f32 v[24:25], v[30:31], v[6:7], v[12:13] neg_lo:[0,0,1] neg_hi:[0,0,1]
	v_dual_fmac_f32 v40, v4, v40 :: v_dual_mov_b32 v4, v15
	v_div_scale_f32 v28, null, v11, v11, v41
	v_pk_fma_f32 v[12:13], v[30:31], v[6:7], v[12:13]
	v_pk_mul_f32 v[18:19], v[18:19], v[22:23]
	v_div_scale_f32 v25, s0, v41, v11, v41
	s_delay_alu instid0(VALU_DEP_4) | instskip(SKIP_1) | instid1(VALU_DEP_3)
	v_rcp_f32_e32 v29, v28
	v_mov_b64_e32 v[22:23], 0x40c0000040800000
	v_div_scale_f32 v6, null, v5, v5, v19
	v_div_scale_f32 v32, s1, v19, v5, v19
	v_div_scale_f32 v30, null, v5, v5, v18
	s_delay_alu instid0(TRANS32_DEP_1) | instskip(SKIP_2) | instid1(VALU_DEP_1)
	v_fma_f32 v14, -v28, v29, 1.0
	v_mul_f32_e32 v12, v27, v40
	v_rcp_f32_e32 v31, v6
	v_dual_fmac_f32 v29, v14, v29 :: v_dual_fma_f32 v15, -v39, v12, v27
	s_delay_alu instid0(VALU_DEP_1) | instskip(SKIP_1) | instid1(TRANS32_DEP_1)
	v_dual_mul_f32 v33, v25, v29 :: v_dual_fmac_f32 v12, v15, v40
	v_pk_mul_f32 v[14:15], v[10:11], v[4:5]
	v_fma_f32 v10, -v6, v31, 1.0
	v_rcp_f32_e32 v4, v30
	s_delay_alu instid0(VALU_DEP_3) | instskip(NEXT) | instid1(VALU_DEP_3)
	v_dual_fma_f32 v35, -v39, v12, v27 :: v_dual_mov_b32 v27, v34
	v_dual_fma_f32 v39, -v28, v33, v25 :: v_dual_mul_f32 v2, v2, v14
	s_delay_alu instid0(VALU_DEP_2) | instskip(SKIP_1) | instid1(VALU_DEP_2)
	v_div_fmas_f32 v12, v35, v40, v12
	s_mov_b32 vcc_lo, s0
	v_dual_fmac_f32 v33, v39, v29 :: v_dual_fmac_f32 v31, v10, v31
	s_delay_alu instid0(TRANS32_DEP_1) | instskip(NEXT) | instid1(VALU_DEP_3)
	v_fma_f32 v14, -v30, v4, 1.0
	v_div_fixup_f32 v17, v12, v5, v17
	s_delay_alu instid0(VALU_DEP_3) | instskip(SKIP_3) | instid1(VALU_DEP_4)
	v_dual_fma_f32 v10, -v28, v33, v25 :: v_dual_mov_b32 v25, v13
	v_pk_mul_f32 v[12:13], v[26:27], v[22:23]
	v_div_scale_f32 v23, null, v15, v15, v2
	v_mul_f32_e32 v22, v32, v31
	v_div_fmas_f32 v10, v10, v29, v33
	s_delay_alu instid0(VALU_DEP_4) | instskip(NEXT) | instid1(VALU_DEP_4)
	v_pk_mul_f32 v[12:13], v[12:13], v[24:25]
	v_rcp_f32_e32 v24, v23
	s_mov_b32 vcc_lo, s1
	v_add_f32_e32 v17, v3, v17
	s_delay_alu instid0(VALU_DEP_2) | instskip(SKIP_1) | instid1(TRANS32_DEP_1)
	v_div_scale_f32 v33, null, v5, v5, v12
	v_div_scale_f32 v25, null, v11, v11, v13
	v_fma_f32 v27, -v23, v24, 1.0
	s_delay_alu instid0(VALU_DEP_3) | instskip(SKIP_1) | instid1(VALU_DEP_3)
	v_rcp_f32_e32 v35, v33
	v_mov_b32_e32 v3, v17
	v_rcp_f32_e32 v28, v25
	s_delay_alu instid0(VALU_DEP_2) | instskip(SKIP_2) | instid1(TRANS32_DEP_2)
	v_fmac_f32_e32 v24, v27, v24
	v_div_scale_f32 v27, s0, v2, v15, v2
	v_fma_f32 v26, -v6, v22, v32
	v_fma_f32 v40, -v33, v35, 1.0
	s_delay_alu instid0(TRANS32_DEP_1) | instskip(NEXT) | instid1(VALU_DEP_4)
	v_fma_f32 v34, -v25, v28, 1.0
	v_mul_f32_e32 v39, v27, v24
	v_fmac_f32_e32 v4, v14, v4
	v_div_scale_f32 v14, s2, v18, v5, v18
	v_fmac_f32_e32 v22, v26, v31
	v_fmac_f32_e32 v35, v40, v35
	v_div_scale_f32 v40, s4, v12, v5, v12
	s_delay_alu instid0(VALU_DEP_4) | instskip(SKIP_3) | instid1(VALU_DEP_4)
	v_mul_f32_e32 v29, v14, v4
	v_fmac_f32_e32 v28, v34, v28
	v_div_scale_f32 v34, s3, v13, v11, v13
	v_fma_f32 v6, -v6, v22, v32
	v_fma_f32 v26, -v30, v29, v14
	s_delay_alu instid0(VALU_DEP_2) | instskip(NEXT) | instid1(VALU_DEP_2)
	v_div_fmas_f32 v31, v6, v31, v22
	v_dual_fmac_f32 v29, v26, v4 :: v_dual_fma_f32 v26, -v23, v39, v27
	s_mov_b32 vcc_lo, s2
	s_delay_alu instid0(VALU_DEP_1) | instskip(NEXT) | instid1(VALU_DEP_2)
	v_fma_f32 v6, -v30, v29, v14
	v_dual_fmac_f32 v39, v26, v24 :: v_dual_mul_f32 v26, v40, v35
	v_mul_f32_e32 v32, v34, v28
	s_delay_alu instid0(VALU_DEP_3) | instskip(SKIP_1) | instid1(VALU_DEP_3)
	v_div_fmas_f32 v4, v6, v4, v29
	s_mov_b32 vcc_lo, s0
	v_fma_f32 v22, -v33, v26, v40
	s_delay_alu instid0(VALU_DEP_3) | instskip(NEXT) | instid1(VALU_DEP_2)
	v_fma_f32 v14, -v25, v32, v34
	v_dual_fmac_f32 v26, v22, v35 :: v_dual_mov_b32 v22, v7
	v_fma_f32 v6, -v23, v39, v27
	v_div_fixup_f32 v23, v10, v11, v41
	v_div_fixup_f32 v10, v4, v5, v18
	s_delay_alu instid0(VALU_DEP_3) | instskip(SKIP_1) | instid1(VALU_DEP_1)
	v_div_fmas_f32 v6, v6, v24, v39
	s_mov_b32 vcc_lo, s3
	v_div_fixup_f32 v2, v6, v15, v2
	v_fma_f32 v6, -v33, v26, v40
	s_delay_alu instid0(VALU_DEP_2) | instskip(SKIP_1) | instid1(VALU_DEP_1)
	v_add_f32_e32 v2, v38, v2
	v_fmac_f32_e32 v32, v14, v28
	v_fma_f32 v7, -v25, v32, v34
	s_delay_alu instid0(VALU_DEP_1) | instskip(SKIP_3) | instid1(VALU_DEP_3)
	v_div_fmas_f32 v7, v7, v28, v32
	s_mov_b32 vcc_lo, s4
	v_div_fmas_f32 v14, v6, v35, v26
	v_cmp_lt_f32_e32 vcc_lo, v9, v20
	v_div_fixup_f32 v13, v7, v11, v13
	v_pk_add_f32 v[6:7], v[36:37], v[22:23]
	v_div_fixup_f32 v11, v31, v5, v19
	v_div_fixup_f32 v4, v14, v5, v12
	v_cndmask_b32_e32 v9, v9, v20, vcc_lo
	v_add_f32_e32 v2, v13, v2
	v_cmp_lt_f32_e32 vcc_lo, v16, v8
	v_pk_add_f32 v[18:19], v[10:11], v[6:7]
	s_delay_alu instid0(VALU_DEP_3) | instskip(NEXT) | instid1(VALU_DEP_2)
	v_dual_add_f32 v4, v4, v2 :: v_dual_mov_b32 v2, v5
	v_mov_b64_e32 v[12:13], v[18:19]
	v_cndmask_b32_e32 v8, v8, v16, vcc_lo
	s_delay_alu instid0(VALU_DEP_3)
	v_mov_b64_e32 v[10:11], v[4:5]
.LBB27_82:
	s_or_b32 exec_lo, exec_lo, s7
	s_wait_dscnt 0x5
	v_or_b32_e32 v16, 16, v21
	v_add_nc_u32_e32 v1, 4, v1
	ds_bpermute_b32 v15, v16, v2
	ds_bpermute_b32 v2, v16, v8
	s_wait_dscnt 0x2
	ds_bpermute_b32 v5, v16, v9
	ds_bpermute_b32 v14, v16, v17
	;; [unrolled: 1-line block ×5, first 2 shown]
	v_cmp_gt_u32_e32 vcc_lo, s5, v1
	s_and_saveexec_b32 s5, vcc_lo
	s_cbranch_execz .LBB27_84
; %bb.83:
	s_wait_dscnt 0x0
	v_dual_add_f32 v38, v10, v4 :: v_dual_mov_b32 v10, v15
	v_dual_mov_b32 v1, v6 :: v_dual_mov_b32 v18, v11
	v_dual_mov_b32 v19, v12 :: v_dual_mov_b32 v20, v7
	v_mov_b32_e32 v21, v15
	s_delay_alu instid0(VALU_DEP_4) | instskip(SKIP_3) | instid1(VALU_DEP_4)
	v_pk_mul_f32 v[16:17], v[10:11], v[10:11]
	v_mov_b32_e32 v10, v3
	v_dual_mul_f32 v4, v11, v7 :: v_dual_mov_b32 v25, 0x40400000
	v_pk_add_f32 v[36:37], v[12:13], v[0:1]
	v_dual_fma_f32 v1, -v11, v15, v17 :: v_dual_mov_b32 v31, v16
	s_delay_alu instid0(VALU_DEP_4)
	v_pk_add_f32 v[22:23], v[14:15], v[10:11] neg_lo:[0,1] neg_hi:[0,1]
	v_pk_add_f32 v[26:27], v[10:11], v[14:15]
	v_mov_b32_e32 v24, v11
	v_pk_fma_f32 v[18:19], v[18:19], v[20:21], v[4:5] op_sel_hi:[1,1,0] neg_lo:[1,0,0] neg_hi:[1,0,0]
	v_dual_sub_f32 v14, v11, v15 :: v_dual_mov_b32 v28, v11
	v_dual_mov_b32 v26, v22 :: v_dual_mov_b32 v30, v15
	v_dual_mov_b32 v36, v12 :: v_dual_mov_b32 v18, v15
	v_mov_b32_e32 v29, v17
	s_delay_alu instid0(VALU_DEP_3) | instskip(SKIP_3) | instid1(VALU_DEP_4)
	v_pk_mul_f32 v[34:35], v[26:27], v[26:27]
	v_add_f32_e32 v1, v16, v1
	v_pk_mul_f32 v[12:13], v[12:13], v[30:31] op_sel:[1,0] op_sel_hi:[0,1]
	v_mov_b64_e32 v[32:33], 0x40c0000040800000
	v_pk_mul_f32 v[20:21], v[26:27], v[34:35]
	v_dual_mul_f32 v4, v22, v15 :: v_dual_mov_b32 v26, v11
	s_delay_alu instid0(VALU_DEP_2) | instskip(NEXT) | instid1(VALU_DEP_3)
	v_dual_mov_b32 v35, v22 :: v_dual_mul_f32 v17, v11, v20
	v_pk_mul_f32 v[10:11], v[22:23], v[20:21]
	s_delay_alu instid0(VALU_DEP_3) | instskip(NEXT) | instid1(VALU_DEP_3)
	v_div_scale_f32 v23, null, v27, v27, v4
	v_dual_mov_b32 v11, v27 :: v_dual_mul_f32 v16, v17, v15
	v_pk_fma_f32 v[20:21], v[28:29], v[6:7], v[12:13] neg_lo:[0,0,1] neg_hi:[0,0,1]
	s_delay_alu instid0(VALU_DEP_3) | instskip(SKIP_1) | instid1(VALU_DEP_3)
	v_rcp_f32_e32 v30, v23
	v_pk_fma_f32 v[12:13], v[28:29], v[6:7], v[12:13]
	v_pk_mul_f32 v[10:11], v[26:27], v[10:11]
	v_dual_mul_f32 v39, v14, v16 :: v_dual_mov_b32 v26, v15
	v_pk_mul_f32 v[16:17], v[24:25], v[34:35]
	v_div_scale_f32 v25, vcc_lo, v4, v27, v4
	s_delay_alu instid0(TRANS32_DEP_1) | instskip(NEXT) | instid1(VALU_DEP_3)
	v_fma_f32 v14, -v23, v30, 1.0
	v_pk_mul_f32 v[16:17], v[16:17], v[18:19]
	s_delay_alu instid0(VALU_DEP_2) | instskip(SKIP_3) | instid1(VALU_DEP_3)
	v_fmac_f32_e32 v30, v14, v30
	v_div_scale_f32 v24, null, v11, v11, v39
	v_div_scale_f32 v28, s0, v39, v11, v39
	v_pk_mul_f32 v[14:15], v[10:11], v[26:27]
	v_rcp_f32_e32 v31, v24
	v_div_scale_f32 v6, null, v27, v27, v17
	v_div_scale_f32 v18, null, v27, v27, v16
	v_div_scale_f32 v35, s1, v17, v27, v17
	s_delay_alu instid0(TRANS32_DEP_1)
	v_fma_f32 v12, -v24, v31, 1.0
	v_mul_f32_e32 v19, v25, v30
	v_mul_f32_e32 v1, v1, v14
	v_rcp_f32_e32 v10, v6
	v_rcp_f32_e32 v26, v18
	v_fmac_f32_e32 v31, v12, v31
	s_delay_alu instid0(VALU_DEP_1) | instskip(SKIP_1) | instid1(TRANS32_DEP_1)
	v_mul_f32_e32 v29, v28, v31
	v_fma_f32 v12, -v23, v19, v25
	v_fma_f32 v14, -v18, v26, 1.0
	s_delay_alu instid0(VALU_DEP_3) | instskip(NEXT) | instid1(VALU_DEP_3)
	v_fma_f32 v21, -v24, v29, v28
	v_fmac_f32_e32 v19, v12, v30
	v_fma_f32 v12, -v6, v10, 1.0
	s_delay_alu instid0(VALU_DEP_3) | instskip(NEXT) | instid1(VALU_DEP_2)
	v_fmac_f32_e32 v29, v21, v31
	v_dual_fma_f32 v25, -v23, v19, v25 :: v_dual_fmac_f32 v10, v12, v10
	v_dual_mov_b32 v21, v13 :: v_dual_mov_b32 v23, v34
	s_delay_alu instid0(VALU_DEP_2) | instskip(NEXT) | instid1(VALU_DEP_4)
	v_div_fmas_f32 v25, v25, v30, v19
	v_fma_f32 v19, -v24, v29, v28
	s_mov_b32 vcc_lo, s0
	s_delay_alu instid0(VALU_DEP_3) | instskip(SKIP_3) | instid1(VALU_DEP_4)
	v_pk_mul_f32 v[12:13], v[22:23], v[32:33]
	v_div_scale_f32 v23, null, v15, v15, v1
	v_mul_f32_e32 v22, v35, v10
	v_div_fmas_f32 v19, v19, v31, v29
	v_pk_mul_f32 v[12:13], v[12:13], v[20:21]
	s_delay_alu instid0(VALU_DEP_4)
	v_rcp_f32_e32 v20, v23
	s_mov_b32 vcc_lo, s1
	v_div_fixup_f32 v4, v25, v27, v4
	v_div_fixup_f32 v19, v19, v11, v39
	v_div_scale_f32 v21, null, v11, v11, v13
	v_div_scale_f32 v31, null, v27, v27, v12
	s_delay_alu instid0(TRANS32_DEP_1) | instskip(NEXT) | instid1(VALU_DEP_3)
	v_fma_f32 v28, -v23, v20, 1.0
	v_rcp_f32_e32 v29, v21
	v_fmac_f32_e32 v26, v14, v26
	s_delay_alu instid0(VALU_DEP_3)
	v_rcp_f32_e32 v33, v31
	v_div_scale_f32 v14, s2, v16, v27, v16
	v_fmac_f32_e32 v20, v28, v20
	v_div_scale_f32 v28, s0, v1, v15, v1
	v_fma_f32 v24, -v6, v22, v35
	v_fma_f32 v32, -v21, v29, 1.0
	s_delay_alu instid0(VALU_DEP_3) | instskip(SKIP_1) | instid1(VALU_DEP_3)
	v_dual_mul_f32 v30, v14, v26 :: v_dual_mul_f32 v34, v28, v20
	v_fma_f32 v40, -v31, v33, 1.0
	v_dual_add_f32 v3, v3, v4 :: v_dual_fmac_f32 v29, v32, v29
	v_div_scale_f32 v32, s3, v13, v11, v13
	v_fmac_f32_e32 v22, v24, v10
	s_delay_alu instid0(VALU_DEP_4) | instskip(SKIP_1) | instid1(VALU_DEP_3)
	v_dual_fma_f32 v24, -v18, v30, v14 :: v_dual_fmac_f32 v33, v40, v33
	v_div_scale_f32 v40, s4, v12, v27, v12
	v_dual_fma_f32 v6, -v6, v22, v35 :: v_dual_mul_f32 v35, v32, v29
	s_delay_alu instid0(VALU_DEP_3) | instskip(SKIP_1) | instid1(VALU_DEP_3)
	v_fmac_f32_e32 v30, v24, v26
	v_fma_f32 v24, -v23, v34, v28
	v_div_fmas_f32 v10, v6, v10, v22
	s_delay_alu instid0(VALU_DEP_3) | instskip(NEXT) | instid1(VALU_DEP_3)
	v_dual_mul_f32 v22, v40, v33 :: v_dual_fma_f32 v6, -v18, v30, v14
	v_dual_fmac_f32 v34, v24, v20 :: v_dual_fma_f32 v14, -v21, v35, v32
	s_mov_b32 vcc_lo, s2
	s_delay_alu instid0(VALU_DEP_1) | instskip(NEXT) | instid1(VALU_DEP_1)
	v_dual_fma_f32 v18, -v31, v22, v40 :: v_dual_fmac_f32 v35, v14, v29
	v_dual_fmac_f32 v22, v18, v33 :: v_dual_mov_b32 v18, v7
	v_div_fmas_f32 v24, v6, v26, v30
	v_fma_f32 v6, -v23, v34, v28
	s_mov_b32 vcc_lo, s0
	v_fma_f32 v7, -v21, v35, v32
	s_delay_alu instid0(VALU_DEP_2) | instskip(SKIP_1) | instid1(VALU_DEP_2)
	v_div_fmas_f32 v6, v6, v20, v34
	s_mov_b32 vcc_lo, s3
	v_div_fmas_f32 v7, v7, v29, v35
	s_mov_b32 vcc_lo, s4
	s_delay_alu instid0(VALU_DEP_2) | instskip(NEXT) | instid1(VALU_DEP_2)
	v_div_fixup_f32 v1, v6, v15, v1
	v_div_fixup_f32 v13, v7, v11, v13
	;; [unrolled: 1-line block ×3, first 2 shown]
	s_delay_alu instid0(VALU_DEP_3) | instskip(SKIP_1) | instid1(VALU_DEP_2)
	v_dual_add_f32 v1, v38, v1 :: v_dual_fma_f32 v6, -v31, v22, v40
	v_div_fixup_f32 v10, v24, v27, v16
	v_add_f32_e32 v1, v13, v1
	s_delay_alu instid0(VALU_DEP_3) | instskip(SKIP_2) | instid1(VALU_DEP_3)
	v_div_fmas_f32 v14, v6, v33, v22
	v_cmp_lt_f32_e32 vcc_lo, v9, v5
	v_pk_add_f32 v[6:7], v[36:37], v[18:19]
	v_div_fixup_f32 v12, v14, v27, v12
	v_cndmask_b32_e32 v9, v9, v5, vcc_lo
	v_cmp_lt_f32_e32 vcc_lo, v2, v8
	s_delay_alu instid0(VALU_DEP_3) | instskip(SKIP_2) | instid1(VALU_DEP_3)
	v_add_f32_e32 v26, v12, v1
	v_pk_add_f32 v[12:13], v[10:11], v[6:7]
	v_cndmask_b32_e32 v8, v8, v2, vcc_lo
	v_mov_b64_e32 v[10:11], v[26:27]
.LBB27_84:
	s_or_b32 exec_lo, exec_lo, s5
	s_wait_dscnt 0x3
	v_mov_b32_e32 v14, v3
.LBB27_85:
	s_or_b32 exec_lo, exec_lo, s6
.LBB27_86:
                                        ; implicit-def: $vgpr3
                                        ; implicit-def: $vgpr15
                                        ; implicit-def: $vgpr4_vgpr5
	s_delay_alu instid0(SALU_CYCLE_1)
	s_mov_b32 s0, exec_lo
	v_cmpx_eq_u32_e32 0, v0
	s_xor_b32 s5, exec_lo, s0
	s_cbranch_execz .LBB27_90
; %bb.87:
	s_wait_dscnt 0x0
	v_mov_b64_e32 v[4:5], s[16:17]
	v_dual_mov_b32 v3, s15 :: v_dual_mov_b32 v2, s14
	v_dual_mov_b32 v1, s13 :: v_dual_mov_b32 v15, s12
	v_mov_b32_e32 v6, s18
	s_cmp_eq_u64 s[8:9], 0
	s_cbranch_scc1 .LBB27_89
; %bb.88:
	v_mov_b64_e32 v[2:3], s[16:17]
	v_dual_mov_b32 v4, s12 :: v_dual_mov_b32 v5, s16
	v_dual_mov_b32 v6, v12 :: v_dual_mov_b32 v7, v11
	v_mul_f32_e32 v16, s12, v12
	v_pk_mul_f32 v[22:23], v[10:11], v[10:11]
	v_pk_add_f32 v[18:19], v[2:3], v[12:13]
	v_dual_mov_b32 v18, s16 :: v_dual_add_f32 v31, s18, v10
	s_delay_alu instid0(VALU_DEP_4) | instskip(SKIP_3) | instid1(VALU_DEP_3)
	v_pk_fma_f32 v[6:7], v[4:5], v[6:7], v[16:17] op_sel_hi:[1,1,0] neg_lo:[1,0,0] neg_hi:[1,0,0]
	v_dual_mov_b32 v5, v11 :: v_dual_subrev_f32 v17, s15, v14
	v_dual_mov_b32 v14, v23 :: v_dual_mov_b32 v10, v23
	v_cmp_gt_f32_e64 s0, s13, v8
	v_pk_mul_f32 v[20:21], s[12:13], v[4:5] op_sel_hi:[0,1]
	s_delay_alu instid0(VALU_DEP_4) | instskip(NEXT) | instid1(VALU_DEP_4)
	v_dual_mul_f32 v16, v17, v17 :: v_dual_mov_b32 v15, s12
	v_pk_mul_f32 v[2:3], v[2:3], v[10:11]
	v_mul_f32_e32 v22, v17, v11
	s_delay_alu instid0(VALU_DEP_4) | instskip(NEXT) | instid1(VALU_DEP_4)
	v_mov_b32_e32 v6, v21
	v_dual_mul_f32 v1, v17, v16 :: v_dual_mov_b32 v28, v11
	v_mul_f32_e32 v29, 0x40400000, v17
	s_delay_alu instid0(VALU_DEP_3) | instskip(SKIP_1) | instid1(VALU_DEP_4)
	v_pk_fma_f32 v[24:25], s[12:13], v[4:5], v[6:7] op_sel_hi:[0,1,1] neg_lo:[0,0,1] neg_hi:[0,0,1]
	v_dual_mov_b32 v25, v11 :: v_dual_sub_f32 v5, s12, v11
	v_dual_mul_f32 v6, s12, v1 :: v_dual_mul_f32 v1, v17, v1
	s_delay_alu instid0(VALU_DEP_2) | instskip(NEXT) | instid1(VALU_DEP_2)
	v_pk_add_f32 v[14:15], v[14:15], v[24:25]
	v_dual_mov_b32 v24, v11 :: v_dual_mul_f32 v6, v11, v6
	s_delay_alu instid0(VALU_DEP_2) | instskip(SKIP_1) | instid1(VALU_DEP_3)
	v_dual_mul_f32 v26, s12, v1 :: v_dual_mov_b32 v25, v15
	v_div_scale_f32 v30, null, v15, v15, v22
	v_dual_mov_b32 v27, v15 :: v_dual_mul_f32 v32, v5, v6
	s_delay_alu instid0(VALU_DEP_2) | instskip(NEXT) | instid1(VALU_DEP_1)
	v_rcp_f32_e32 v33, v30
	v_pk_mul_f32 v[24:25], v[24:25], v[26:27]
	v_div_scale_f32 v26, vcc_lo, v22, v15, v22
	s_delay_alu instid0(VALU_DEP_2) | instskip(NEXT) | instid1(TRANS32_DEP_1)
	v_div_scale_f32 v23, null, v25, v25, v32
	v_fma_f32 v1, -v30, v33, 1.0
	v_mul_f32_e32 v6, s12, v16
	s_delay_alu instid0(VALU_DEP_3) | instskip(NEXT) | instid1(VALU_DEP_2)
	v_rcp_f32_e32 v27, v23
	v_fmac_f32_e32 v33, v1, v33
	s_delay_alu instid0(VALU_DEP_2) | instskip(SKIP_2) | instid1(VALU_DEP_4)
	v_pk_mul_f32 v[6:7], v[28:29], v[6:7]
	v_cndmask_b32_e64 v1, s13, v8, s0
	v_div_scale_f32 v29, s0, v32, v25, v32
	v_mul_f32_e32 v8, v26, v33
	s_delay_alu instid0(TRANS32_DEP_1) | instskip(SKIP_1) | instid1(VALU_DEP_3)
	v_fma_f32 v4, -v23, v27, 1.0
	v_div_scale_f32 v28, null, v15, v15, v7
	v_dual_mov_b32 v21, s12 :: v_dual_fma_f32 v5, -v30, v8, v26
	s_delay_alu instid0(VALU_DEP_3) | instskip(NEXT) | instid1(VALU_DEP_3)
	v_fmac_f32_e32 v27, v4, v27
	v_rcp_f32_e32 v35, v28
	v_div_scale_f32 v34, null, v15, v15, v6
	s_delay_alu instid0(VALU_DEP_3) | instskip(NEXT) | instid1(VALU_DEP_3)
	v_fmac_f32_e32 v8, v5, v33
	v_mul_f32_e32 v36, v29, v27
	v_mov_b64_e32 v[4:5], 0x4080000040c00000
	v_pk_fma_f32 v[10:11], v[20:21], v[12:13], v[2:3] neg_lo:[0,0,1] neg_hi:[0,0,1]
	s_delay_alu instid0(TRANS32_DEP_1) | instskip(SKIP_3) | instid1(VALU_DEP_4)
	v_fma_f32 v37, -v28, v35, 1.0
	v_fma_f32 v26, -v30, v8, v26
	v_fma_f32 v30, -v23, v36, v29
	v_pk_fma_f32 v[2:3], v[20:21], v[12:13], v[2:3]
	v_dual_mov_b32 v3, v11 :: v_dual_fmac_f32 v35, v37, v35
	s_delay_alu instid0(VALU_DEP_4) | instskip(NEXT) | instid1(VALU_DEP_4)
	v_div_fmas_f32 v8, v26, v33, v8
	v_fmac_f32_e32 v36, v30, v27
	v_pk_mul_f32 v[4:5], v[16:17], v[4:5]
	v_div_scale_f32 v26, s1, v7, v15, v7
	s_delay_alu instid0(VALU_DEP_4) | instskip(NEXT) | instid1(VALU_DEP_4)
	v_div_fixup_f32 v8, v8, v15, v22
	v_fma_f32 v29, -v23, v36, v29
	v_pk_mul_f32 v[22:23], v[14:15], v[24:25]
	v_pk_mul_f32 v[2:3], v[4:5], v[2:3]
	v_rcp_f32_e32 v10, v34
	s_mov_b32 vcc_lo, s0
	v_mul_f32_e32 v11, v26, v35
	v_div_scale_f32 v13, null, v23, v23, v22
	v_div_scale_f32 v14, null, v25, v25, v2
	s_delay_alu instid0(TRANS32_DEP_1) | instskip(NEXT) | instid1(VALU_DEP_3)
	v_fma_f32 v30, -v34, v10, 1.0
	v_rcp_f32_e32 v5, v13
	v_div_scale_f32 v4, s2, v6, v15, v6
	s_delay_alu instid0(VALU_DEP_3) | instskip(SKIP_2) | instid1(TRANS32_DEP_2)
	v_rcp_f32_e32 v21, v14
	v_div_fmas_f32 v16, v29, v27, v36
	v_div_scale_f32 v27, null, v15, v15, v3
	v_fma_f32 v20, -v13, v5, 1.0
	v_fmac_f32_e32 v10, v30, v10
	s_mov_b32 vcc_lo, s1
	s_delay_alu instid0(TRANS32_DEP_1) | instskip(SKIP_3) | instid1(VALU_DEP_4)
	v_fma_f32 v29, -v14, v21, 1.0
	v_fma_f32 v17, -v28, v11, v26
	v_fmac_f32_e32 v5, v20, v5
	v_div_scale_f32 v20, s0, v22, v23, v22
	v_dual_fmac_f32 v21, v29, v21 :: v_dual_mul_f32 v24, v4, v10
	s_delay_alu instid0(VALU_DEP_4) | instskip(SKIP_1) | instid1(VALU_DEP_3)
	v_fmac_f32_e32 v11, v17, v35
	v_rcp_f32_e32 v30, v27
	v_mul_f32_e32 v33, v20, v5
	v_div_scale_f32 v29, s3, v2, v25, v2
	s_delay_alu instid0(VALU_DEP_3) | instskip(NEXT) | instid1(TRANS32_DEP_1)
	v_dual_fma_f32 v17, -v34, v24, v4 :: v_dual_fma_f32 v26, -v28, v11, v26
	v_fma_f32 v36, -v27, v30, 1.0
	s_delay_alu instid0(VALU_DEP_2) | instskip(SKIP_1) | instid1(VALU_DEP_3)
	v_fmac_f32_e32 v24, v17, v10
	v_fma_f32 v17, -v13, v33, v20
	v_dual_mul_f32 v28, v29, v21 :: v_dual_fmac_f32 v30, v36, v30
	v_div_scale_f32 v36, s4, v3, v15, v3
	s_delay_alu instid0(VALU_DEP_3) | instskip(SKIP_2) | instid1(VALU_DEP_3)
	v_dual_fma_f32 v4, -v34, v24, v4 :: v_dual_fmac_f32 v33, v17, v5
	v_div_fmas_f32 v11, v26, v35, v11
	s_mov_b32 vcc_lo, s2
	v_dual_mul_f32 v26, v36, v30 :: v_dual_fma_f32 v17, -v14, v28, v29
	s_delay_alu instid0(VALU_DEP_3) | instskip(SKIP_3) | instid1(VALU_DEP_3)
	v_div_fmas_f32 v10, v4, v10, v24
	v_fma_f32 v4, -v13, v33, v20
	s_mov_b32 vcc_lo, s0
	v_div_fixup_f32 v7, v11, v15, v7
	v_div_fixup_f32 v6, v10, v15, v6
	s_delay_alu instid0(VALU_DEP_3) | instskip(SKIP_1) | instid1(VALU_DEP_1)
	v_div_fmas_f32 v4, v4, v5, v33
	s_mov_b32 vcc_lo, s3
	v_div_fixup_f32 v4, v4, v23, v22
	v_fmac_f32_e32 v28, v17, v21
	s_delay_alu instid0(VALU_DEP_1) | instskip(NEXT) | instid1(VALU_DEP_1)
	v_dual_fma_f32 v13, -v27, v26, v36 :: v_dual_fma_f32 v5, -v14, v28, v29
	v_fmac_f32_e32 v26, v13, v30
	v_div_fixup_f32 v13, v16, v25, v32
	v_add_f32_e32 v16, v31, v4
	s_delay_alu instid0(VALU_DEP_4) | instskip(SKIP_1) | instid1(VALU_DEP_1)
	v_div_fmas_f32 v5, v5, v21, v28
	s_mov_b32 vcc_lo, s4
	v_div_fixup_f32 v2, v5, v25, v2
	v_pk_add_f32 v[4:5], v[18:19], v[12:13]
	s_delay_alu instid0(VALU_DEP_2) | instskip(NEXT) | instid1(VALU_DEP_2)
	v_dual_add_f32 v11, v2, v16 :: v_dual_fma_f32 v14, -v27, v26, v36
	v_pk_add_f32 v[4:5], v[4:5], v[6:7]
	s_delay_alu instid0(VALU_DEP_2) | instskip(SKIP_1) | instid1(VALU_DEP_2)
	v_div_fmas_f32 v14, v14, v30, v26
	v_cmp_lt_f32_e32 vcc_lo, s14, v9
	v_div_fixup_f32 v10, v14, v15, v3
	v_cndmask_b32_e32 v2, s14, v9, vcc_lo
	s_delay_alu instid0(VALU_DEP_2)
	v_dual_add_f32 v3, s15, v8 :: v_dual_add_f32 v6, v10, v11
.LBB27_89:
	s_or_b32 s28, s28, exec_lo
.LBB27_90:
	s_or_b32 exec_lo, exec_lo, s5
	s_branch .LBB27_99
.LBB27_91:
	s_cmp_eq_u32 s19, 1
	s_cbranch_scc0 .LBB27_98
; %bb.92:
	s_bfe_u32 s0, ttmp6, 0x4000c
	s_and_b32 s1, ttmp6, 15
	s_add_co_i32 s0, s0, 1
	s_getreg_b32 s2, hwreg(HW_REG_IB_STS2, 6, 4)
	s_mul_i32 s0, ttmp9, s0
	s_mov_b32 s7, 0
	s_add_co_i32 s1, s1, s0
	s_cmp_eq_u32 s2, 0
	s_wait_dscnt 0x5
	v_mbcnt_lo_u32_b32 v1, -1, 0
	s_cselect_b32 s20, ttmp9, s1
	s_mov_b32 s21, s7
	s_lshr_b64 s[0:1], s[8:9], 8
	s_lshl_b32 s6, s20, 8
	s_cmp_lg_u64 s[0:1], s[20:21]
	s_cbranch_scc0 .LBB27_101
; %bb.93:
	s_lshl_b64 s[0:1], s[6:7], 2
	s_wait_dscnt 0x0
	v_dual_mov_b32 v2, 1.0 :: v_dual_mov_b32 v6, 0
	s_add_nc_u64 s[0:1], s[22:23], s[0:1]
	v_mov_b64_e32 v[4:5], 0x3f80000000000000
	global_load_b32 v7, v0, s[0:1] scale_offset
	v_mov_b32_dpp v9, v2 quad_perm:[1,0,3,2] row_mask:0xf bank_mask:0xf
	v_mov_b32_dpp v8, v6 quad_perm:[1,0,3,2] row_mask:0xf bank_mask:0xf
	v_mov_b64_e32 v[2:3], 0x40c0000040800000
	s_delay_alu instid0(VALU_DEP_3) | instskip(NEXT) | instid1(VALU_DEP_3)
	v_dual_add_f32 v12, -1.0, v9 :: v_dual_mul_f32 v11, v9, v9
	v_pk_add_f32 v[4:5], v[8:9], v[4:5]
	v_dual_fma_f32 v14, v9, v9, -v9 :: v_dual_mov_b32 v16, v8
	v_fma_f32 v8, v9, 0, -v8
	v_mov_b32_e32 v10, v9
	s_delay_alu instid0(VALU_DEP_4) | instskip(NEXT) | instid1(VALU_DEP_4)
	v_mov_b32_dpp v13, v5 quad_perm:[2,3,0,1] row_mask:0xf bank_mask:0xf
	v_dual_add_f32 v18, 1.0, v14 :: v_dual_fmac_f32 v16, 0, v11
	v_dual_mov_b32 v15, v5 :: v_dual_mov_b32 v11, v5
	v_mov_b32_e32 v17, v5
	s_delay_alu instid0(VALU_DEP_4) | instskip(NEXT) | instid1(VALU_DEP_1)
	v_dual_mul_f32 v22, v13, v13 :: v_dual_mov_b32 v21, v13
	v_dual_mov_b32 v19, v5 :: v_dual_fma_f32 v23, -v5, v13, v22
	s_wait_loadcnt 0x0
	v_mov_b32_dpp v20, v7 quad_perm:[1,0,3,2] row_mask:0xf bank_mask:0xf
	s_delay_alu instid0(VALU_DEP_1) | instskip(SKIP_2) | instid1(VALU_DEP_2)
	v_cmp_lt_f32_e32 vcc_lo, v7, v20
	v_dual_sub_f32 v24, v7, v20 :: v_dual_cndmask_b32 v25, v20, v7
	v_cmp_gt_f32_e32 vcc_lo, v7, v20
	v_dual_mul_f32 v26, v24, v24 :: v_dual_mul_f32 v27, 0x40400000, v24
	v_mul_f32_e32 v28, 4.0, v24
	s_delay_alu instid0(VALU_DEP_4) | instskip(SKIP_3) | instid1(VALU_DEP_3)
	v_mov_b32_dpp v29, v25 quad_perm:[2,3,0,1] row_mask:0xf bank_mask:0xf
	v_cndmask_b32_e32 v7, v20, v7, vcc_lo
	v_div_scale_f32 v31, null, v5, v5, v24
	v_dual_mul_f32 v14, v24, v26 :: v_dual_mul_f32 v33, 0x40c00000, v26
	v_mov_b32_dpp v30, v7 quad_perm:[2,3,0,1] row_mask:0xf bank_mask:0xf
	v_cmp_lt_f32_e64 s0, v25, v29
	v_dual_mul_f32 v26, v26, v9 :: v_dual_mul_f32 v27, v27, v8
	s_delay_alu instid0(VALU_DEP_4) | instskip(SKIP_1) | instid1(VALU_DEP_4)
	v_pk_mul_f32 v[10:11], v[14:15], v[10:11]
	v_mul_f32_e32 v33, v16, v33
	v_cndmask_b32_e64 v25, v29, v25, s0
	v_cmp_gt_f32_e64 s0, v7, v30
	v_div_scale_f32 v16, null, v5, v5, v27
	v_div_scale_f32 v32, vcc_lo, v24, v5, v24
	s_delay_alu instid0(VALU_DEP_3) | instskip(SKIP_3) | instid1(VALU_DEP_4)
	v_cndmask_b32_e64 v7, v30, v7, s0
	v_mov_b32_dpp v30, v25 row_ror:4 row_mask:0xf bank_mask:0xf
	v_div_scale_f32 v15, s0, v26, v5, v26
	v_div_scale_f32 v35, s1, v27, v5, v27
	v_mov_b32_dpp v34, v7 row_ror:4 row_mask:0xf bank_mask:0xf
	s_delay_alu instid0(VALU_DEP_4) | instskip(SKIP_2) | instid1(VALU_DEP_2)
	v_cmp_lt_f32_e64 s3, v25, v30
	v_mul_f32_e32 v28, v28, v8
	v_rcp_f32_e32 v8, v31
	v_dual_mul_f32 v10, v12, v10 :: v_dual_cndmask_b32 v25, v30, v25, s3
	v_cmp_gt_f32_e64 s3, v7, v34
	v_mul_f32_e32 v29, v24, v14
	v_div_scale_f32 v14, null, v5, v5, v26
	v_div_scale_f32 v36, null, v5, v5, v28
	s_delay_alu instid0(TRANS32_DEP_1) | instskip(NEXT) | instid1(VALU_DEP_4)
	v_fma_f32 v38, -v31, v8, 1.0
	v_dual_cndmask_b32 v7, v34, v7, s3 :: v_dual_mul_f32 v9, v29, v9
	v_add_f32_e32 v41, v11, v23
	v_mov_b32_dpp v23, v25 row_ror:8 row_mask:0xf bank_mask:0xf
	v_mul_f32_e32 v29, v5, v11
	v_rcp_f32_e32 v12, v14
	v_rcp_f32_e32 v30, v16
	v_div_scale_f32 v34, null, v11, v11, v33
	v_rcp_f32_e32 v40, v36
	v_fmac_f32_e32 v8, v38, v8
	v_mul_f32_e32 v9, v18, v9
	v_div_scale_f32 v18, null, v11, v11, v10
	v_cmp_lt_f32_e64 s5, v25, v23
	v_mov_b32_dpp v38, v7 row_ror:8 row_mask:0xf bank_mask:0xf
	v_rcp_f32_e32 v43, v34
	v_mul_f32_e32 v44, v32, v8
	v_fma_f32 v45, -v14, v12, 1.0
	v_cndmask_b32_e64 v23, v23, v25, s5
	v_rcp_f32_e32 v25, v18
	v_fma_f32 v46, -v16, v30, 1.0
	v_fma_f32 v47, -v36, v40, 1.0
	v_cmp_gt_f32_e64 s5, v7, v38
	v_div_scale_f32 v37, s2, v28, v5, v28
	s_delay_alu instid0(VALU_DEP_4)
	v_dual_fma_f32 v49, -v31, v44, v32 :: v_dual_fmac_f32 v30, v46, v30
	v_fmac_f32_e32 v12, v45, v12
	v_fma_f32 v45, -v34, v43, 1.0
	v_fmac_f32_e32 v40, v47, v40
	v_fma_f32 v51, -v18, v25, 1.0
	v_cndmask_b32_e64 v7, v38, v7, s5
	v_div_scale_f32 v38, null, v29, v29, v9
	v_dual_fmac_f32 v44, v49, v8 :: v_dual_mul_f32 v52, v35, v30
	v_fmac_f32_e32 v43, v45, v43
	v_dual_mul_f32 v45, v37, v40 :: v_dual_fmac_f32 v25, v51, v25
	v_mul_f32_e32 v49, v15, v12
	v_rcp_f32_e32 v50, v38
	v_div_scale_f32 v39, s3, v33, v11, v33
	v_div_scale_f32 v42, s4, v10, v11, v10
	ds_swizzle_b32 v46, v23 offset:swizzle(BROADCAST,32,15)
	v_dual_fma_f32 v31, -v31, v44, v32 :: v_dual_fma_f32 v32, -v14, v49, v15
	v_dual_fma_f32 v51, -v16, v52, v35 :: v_dual_mul_f32 v54, v39, v43
	v_fma_f32 v53, -v38, v50, 1.0
	s_delay_alu instid0(VALU_DEP_3) | instskip(SKIP_1) | instid1(VALU_DEP_4)
	v_div_fmas_f32 v8, v31, v8, v44
	v_fma_f32 v31, -v36, v45, v37
	v_dual_fmac_f32 v49, v32, v12 :: v_dual_fmac_f32 v52, v51, v30
	v_div_scale_f32 v48, s5, v9, v29, v9
	v_dual_mul_f32 v32, v42, v25 :: v_dual_fmac_f32 v50, v53, v50
	s_delay_alu instid0(VALU_DEP_3)
	v_dual_fmac_f32 v45, v31, v40 :: v_dual_fma_f32 v14, -v14, v49, v15
	s_mov_b32 vcc_lo, s0
	v_fma_f32 v44, -v34, v54, v39
	v_div_fixup_f32 v8, v8, v5, v24
	v_dual_fma_f32 v15, -v18, v32, v42 :: v_dual_mul_f32 v31, v48, v50
	v_div_fmas_f32 v12, v14, v12, v49
	s_wait_dscnt 0x0
	v_cmp_lt_f32_e32 vcc_lo, v23, v46
	v_fma_f32 v24, -v16, v52, v35
	v_fma_f32 v35, -v36, v45, v37
	v_dual_fmac_f32 v54, v44, v43 :: v_dual_fmac_f32 v32, v15, v25
	v_dual_fma_f32 v14, -v38, v31, v48 :: v_dual_add_f32 v8, v8, v20
	v_div_fixup_f32 v12, v12, v5, v26
	s_delay_alu instid0(VALU_DEP_3) | instskip(NEXT) | instid1(VALU_DEP_4)
	v_fma_f32 v15, -v34, v54, v39
	v_fma_f32 v18, -v18, v32, v42
	v_cndmask_b32_e32 v44, v46, v23, vcc_lo
	v_mov_b32_dpp v26, v8 quad_perm:[2,3,0,1] row_mask:0xf bank_mask:0xf
	v_dual_add_f32 v16, v4, v12 :: v_dual_fmac_f32 v31, v14, v50
	s_mov_b32 vcc_lo, s4
	ds_swizzle_b32 v47, v7 offset:swizzle(BROADCAST,32,15)
	v_div_fmas_f32 v12, v18, v25, v32
	v_sub_f32_e32 v8, v8, v26
	v_dual_mul_f32 v20, v16, v13 :: v_dual_fma_f32 v14, -v38, v31, v48
	s_mov_b32 vcc_lo, s1
	s_delay_alu instid0(VALU_DEP_3)
	v_div_fixup_f32 v10, v12, v11, v10
	v_div_fmas_f32 v18, v24, v30, v52
	s_mov_b32 vcc_lo, s5
	v_mov_b32_dpp v12, v16 quad_perm:[2,3,0,1] row_mask:0xf bank_mask:0xf
	v_div_fmas_f32 v14, v14, v50, v31
	v_dual_mul_f32 v23, v8, v8 :: v_dual_mul_f32 v25, v5, v8
	s_mov_b32 vcc_lo, s3
	v_div_fixup_f32 v24, v18, v5, v27
	v_div_fmas_f32 v27, v15, v43, v54
	s_mov_b32 vcc_lo, s2
	v_dual_mul_f32 v30, 4.0, v8 :: v_dual_add_f32 v10, v4, v10
	v_div_fmas_f32 v31, v35, v40, v45
	v_div_fixup_f32 v9, v14, v29, v9
	v_dual_mul_f32 v18, v5, v12 :: v_dual_mul_f32 v29, v11, v12
	v_pk_add_f32 v[14:15], v[16:17], v[12:13]
	v_dual_mul_f32 v12, v8, v23 :: v_dual_mul_f32 v17, v23, v13
	v_mul_f32_e32 v23, 0x40c00000, v23
	v_div_fixup_f32 v27, v27, v11, v33
	v_div_fixup_f32 v28, v31, v5, v28
	v_dual_add_f32 v31, v24, v10 :: v_dual_fmac_f32 v29, v22, v16
	v_add_f32_e32 v24, v4, v9
	v_dual_mul_f32 v22, v8, v12 :: v_dual_mul_f32 v32, v5, v17
	v_dual_mul_f32 v9, v12, v13 :: v_dual_mov_b32 v4, 0x40400000
	v_pk_add_f32 v[16:17], v[20:21], v[18:19] neg_lo:[0,1] neg_hi:[0,1]
	v_div_scale_f32 v18, null, v15, v15, v25
	s_delay_alu instid0(VALU_DEP_4) | instskip(SKIP_2) | instid1(VALU_DEP_4)
	v_dual_add_f32 v27, v27, v24 :: v_dual_mul_f32 v22, v22, v13
	v_mov_b32_dpp v33, v31 quad_perm:[2,3,0,1] row_mask:0xf bank_mask:0xf
	v_pk_mul_f32 v[8:9], v[4:5], v[8:9]
	v_rcp_f32_e32 v35, v18
	v_div_scale_f32 v36, null, v15, v15, v32
	v_pk_mul_f32 v[10:11], v[14:15], v[14:15]
	v_dual_mul_f32 v29, v23, v29 :: v_dual_add_f32 v27, v28, v27
	v_dual_add_f32 v28, v31, v33 :: v_dual_mul_f32 v33, v5, v33
	v_pk_mul_f32 v[8:9], v[8:9], v[16:17]
	v_rcp_f32_e32 v16, v36
	v_mul_f32_e32 v5, v5, v22
	v_fma_f32 v38, -v18, v35, 1.0
	v_div_scale_f32 v17, null, v11, v11, v29
	v_mov_b32_dpp v39, v27 quad_perm:[2,3,0,1] row_mask:0xf bank_mask:0xf
	v_fma_f32 v13, v31, v13, -v33
	v_div_scale_f32 v31, null, v15, v15, v8
	v_div_scale_f32 v20, vcc_lo, v25, v15, v25
	v_dual_mul_f32 v5, v41, v5 :: v_dual_fmac_f32 v35, v38, v35
	v_fma_f32 v38, -v36, v16, 1.0
	v_dual_mov_b32 v12, v15 :: v_dual_mul_f32 v34, v15, v11
	v_div_scale_f32 v40, null, v11, v11, v9
	v_rcp_f32_e32 v42, v17
	v_dual_add_f32 v27, v27, v39 :: v_dual_mul_f32 v30, v30, v13
	v_rcp_f32_e32 v39, v31
	v_div_scale_f32 v37, s0, v32, v15, v32
	v_dual_mul_f32 v13, v20, v35 :: v_dual_fmac_f32 v16, v38, v16
	v_div_scale_f32 v43, null, v34, v34, v5
	v_rcp_f32_e32 v45, v40
	v_fma_f32 v38, -v17, v42, 1.0
	s_delay_alu instid0(VALU_DEP_3) | instskip(SKIP_3) | instid1(VALU_DEP_3)
	v_dual_fma_f32 v49, -v18, v13, v20 :: v_dual_mul_f32 v50, v37, v16
	v_fma_f32 v51, -v31, v39, 1.0
	v_rcp_f32_e32 v46, v43
	v_div_scale_f32 v22, s1, v29, v11, v29
	v_dual_fmac_f32 v42, v38, v42 :: v_dual_fmac_f32 v13, v49, v35
	v_fma_f32 v38, -v40, v45, 1.0
	v_dual_fmac_f32 v39, v51, v39 :: v_dual_fma_f32 v51, -v36, v50, v37
	v_div_scale_f32 v48, null, v15, v15, v30
	v_div_scale_f32 v33, s2, v8, v15, v8
	v_div_scale_f32 v41, s3, v9, v11, v9
	s_delay_alu instid0(VALU_DEP_4)
	v_dual_fmac_f32 v45, v38, v45 :: v_dual_fmac_f32 v50, v51, v16
	v_fma_f32 v18, -v18, v13, v20
	v_fma_f32 v20, -v43, v46, 1.0
	v_mul_f32_e32 v51, v22, v42
	v_rcp_f32_e32 v38, v48
	v_div_scale_f32 v49, s4, v5, v34, v5
	s_delay_alu instid0(VALU_DEP_3)
	v_fmac_f32_e32 v46, v20, v46
	v_div_fmas_f32 v13, v18, v35, v13
	v_mul_f32_e32 v18, v33, v39
	v_dual_mul_f32 v35, v41, v45 :: v_dual_fma_f32 v20, -v36, v50, v37
	v_fma_f32 v36, -v17, v51, v22
	v_fma_f32 v37, -v48, v38, 1.0
	s_mov_b32 vcc_lo, s0
	v_div_fixup_f32 v13, v13, v15, v25
	v_div_fmas_f32 v16, v20, v16, v50
	v_fma_f32 v20, -v31, v18, v33
	v_fma_f32 v50, -v40, v35, v41
	v_fmac_f32_e32 v51, v36, v42
	v_mul_f32_e32 v36, v49, v46
	v_fmac_f32_e32 v38, v37, v38
	v_div_scale_f32 v37, s0, v30, v15, v30
	v_dual_fmac_f32 v35, v50, v45 :: v_dual_fmac_f32 v18, v20, v39
	s_delay_alu instid0(VALU_DEP_2) | instskip(SKIP_1) | instid1(VALU_DEP_3)
	v_dual_fma_f32 v20, -v43, v36, v49 :: v_dual_mul_f32 v25, v37, v38
	v_fma_f32 v17, -v17, v51, v22
	v_dual_add_f32 v22, v13, v26 :: v_dual_fma_f32 v26, -v40, v35, v41
	v_div_fixup_f32 v13, v16, v15, v32
	v_fma_f32 v16, -v31, v18, v33
	v_fmac_f32_e32 v36, v20, v46
	v_fma_f32 v20, -v48, v25, v37
	s_mov_b32 vcc_lo, s2
	v_add_f32_e32 v13, v14, v13
	v_div_fmas_f32 v14, v16, v39, v18
	v_mov_b32_dpp v31, v22 row_ror:4 row_mask:0xf bank_mask:0xf
	v_fma_f32 v16, -v43, v36, v49
	s_mov_b32 vcc_lo, s3
	v_mov_b32_dpp v19, v15 row_ror:4 row_mask:0xf bank_mask:0xf
	v_fmac_f32_e32 v25, v20, v38
	v_div_fmas_f32 v20, v26, v45, v35
	s_mov_b32 vcc_lo, s4
	v_div_fixup_f32 v26, v14, v15, v8
	v_sub_f32_e32 v14, v22, v31
	v_div_fmas_f32 v8, v16, v46, v36
	s_mov_b32 vcc_lo, s1
	v_mov_b32_dpp v18, v13 row_ror:4 row_mask:0xf bank_mask:0xf
	v_dual_mul_f32 v22, v13, v19 :: v_dual_fma_f32 v16, -v48, v25, v37
	v_div_fixup_f32 v32, v20, v11, v9
	v_div_fmas_f32 v33, v17, v42, v51
	v_div_fixup_f32 v5, v8, v34, v5
	v_dual_mul_f32 v9, v14, v14 :: v_dual_mul_f32 v34, v15, v14
	s_mov_b32 vcc_lo, s0
	v_dual_mov_b32 v10, v15 :: v_dual_mov_b32 v21, v15
	v_div_fmas_f32 v25, v16, v38, v25
	v_pk_mul_f32 v[16:17], v[18:19], v[18:19]
	v_dual_mov_b32 v23, v19 :: v_dual_mov_b32 v24, v11
	v_dual_mul_f32 v20, v15, v18 :: v_dual_mov_b32 v8, v14
	v_dual_add_f32 v16, v28, v32 :: v_dual_add_f32 v5, v27, v5
	v_div_fixup_f32 v28, v33, v11, v29
	v_mul_f32_e32 v29, v14, v9
	v_div_fixup_f32 v27, v25, v15, v30
	v_mul_f32_e32 v30, v9, v19
	v_pk_add_f32 v[20:21], v[22:23], v[20:21] neg_lo:[0,1] neg_hi:[0,1]
	v_dual_fma_f32 v22, -v15, v19, v17 :: v_dual_add_f32 v25, v26, v16
	s_delay_alu instid0(VALU_DEP_3) | instskip(SKIP_1) | instid1(VALU_DEP_3)
	v_dual_add_f32 v26, v28, v5 :: v_dual_mul_f32 v30, v15, v30
	v_dual_mul_f32 v28, v14, v29 :: v_dual_mul_f32 v5, v29, v19
	v_add_f32_e32 v29, v11, v22
	s_delay_alu instid0(VALU_DEP_4)
	v_mov_b32_dpp v16, v25 row_ror:4 row_mask:0xf bank_mask:0xf
	v_pk_mul_f32 v[22:23], v[24:25], v[18:19]
	v_add_f32_e32 v24, v27, v26
	v_pk_mul_f32 v[26:27], v[14:15], v[4:5]
	v_dual_mul_f32 v5, v28, v19 :: v_dual_mov_b32 v14, v13
	v_add_f32_e32 v35, v25, v16
	v_pk_fma_f32 v[12:13], v[12:13], v[16:17], v[22:23] op_sel:[0,0,1] op_sel_hi:[1,1,0]
	v_pk_fma_f32 v[10:11], v[10:11], v[16:17], v[22:23] op_sel:[0,0,1] op_sel_hi:[1,1,0] neg_lo:[1,0,0] neg_hi:[1,0,0]
	s_delay_alu instid0(VALU_DEP_4)
	v_mul_f32_e32 v5, v15, v5
	v_pk_add_f32 v[14:15], v[14:15], v[18:19]
	v_pk_mul_f32 v[8:9], v[8:9], v[2:3]
	v_mov_b32_dpp v12, v24 row_ror:4 row_mask:0xf bank_mask:0xf
	v_mov_b32_e32 v11, v13
	v_pk_mul_f32 v[16:17], v[26:27], v[20:21]
	v_div_scale_f32 v13, null, v15, v15, v34
	s_delay_alu instid0(VALU_DEP_4)
	v_dual_add_f32 v37, v24, v12 :: v_dual_mul_f32 v5, v29, v5
	v_mov_b32_e32 v12, v15
	v_div_scale_f32 v20, null, v15, v15, v30
	v_pk_mul_f32 v[8:9], v[8:9], v[10:11]
	v_rcp_f32_e32 v29, v13
	v_div_scale_f32 v27, null, v15, v15, v16
	s_delay_alu instid0(VALU_DEP_3) | instskip(NEXT) | instid1(VALU_DEP_2)
	v_rcp_f32_e32 v32, v20
	v_div_scale_f32 v36, null, v15, v15, v8
	v_mov_b32_dpp v18, v15 row_ror:8 row_mask:0xf bank_mask:0xf
	s_delay_alu instid0(TRANS32_DEP_2) | instskip(SKIP_1) | instid1(VALU_DEP_3)
	v_fma_f32 v39, -v13, v29, 1.0
	v_rcp_f32_e32 v33, v27
	v_rcp_f32_e32 v42, v36
	v_div_scale_f32 v19, vcc_lo, v34, v15, v34
	v_fma_f32 v40, -v20, v32, 1.0
	v_fmac_f32_e32 v29, v39, v29
	v_dual_mov_b32 v21, v15 :: v_dual_mov_b32 v22, v15
	v_mov_b32_e32 v23, v18
	v_div_scale_f32 v25, s0, v30, v15, v30
	v_fma_f32 v41, -v27, v33, 1.0
	v_dual_fmac_f32 v32, v40, v32 :: v_dual_mul_f32 v46, v19, v29
	v_fma_f32 v40, -v36, v42, 1.0
	v_pk_mul_f32 v[10:11], v[22:23], v[22:23]
	v_div_scale_f32 v28, s1, v16, v15, v16
	s_delay_alu instid0(VALU_DEP_3) | instskip(SKIP_1) | instid1(VALU_DEP_4)
	v_dual_fmac_f32 v33, v41, v33 :: v_dual_fmac_f32 v42, v40, v42
	v_fma_f32 v41, -v13, v46, v19
	v_mul_f32_e32 v43, v15, v10
	v_div_scale_f32 v39, null, v10, v10, v17
	s_delay_alu instid0(VALU_DEP_4) | instskip(NEXT) | instid1(VALU_DEP_4)
	v_mul_f32_e32 v52, v28, v33
	v_fmac_f32_e32 v46, v41, v29
	v_div_scale_f32 v48, null, v10, v10, v9
	s_delay_alu instid0(VALU_DEP_4) | instskip(SKIP_4) | instid1(VALU_DEP_3)
	v_rcp_f32_e32 v49, v39
	v_div_scale_f32 v50, null, v43, v43, v5
	v_mul_f32_e32 v41, v25, v32
	v_fma_f32 v13, -v13, v46, v19
	v_rcp_f32_e32 v51, v48
	v_rcp_f32_e32 v40, v50
	v_div_scale_f32 v38, s2, v8, v15, v8
	v_fma_f32 v19, -v20, v41, v25
	v_fma_f32 v53, -v39, v49, 1.0
	v_div_fmas_f32 v13, v13, v29, v46
	v_fma_f32 v29, -v27, v52, v28
	v_div_scale_f32 v45, s3, v17, v10, v17
	v_fma_f32 v46, -v48, v51, 1.0
	v_dual_fmac_f32 v41, v19, v32 :: v_dual_mul_f32 v54, v38, v42
	v_fmac_f32_e32 v49, v53, v49
	v_fmac_f32_e32 v52, v29, v33
	v_fma_f32 v29, -v50, v40, 1.0
	v_div_scale_f32 v19, s4, v9, v10, v9
	v_dual_fmac_f32 v51, v46, v51 :: v_dual_fma_f32 v46, -v36, v54, v38
	s_delay_alu instid0(VALU_DEP_4) | instskip(NEXT) | instid1(VALU_DEP_2)
	v_dual_fma_f32 v20, -v20, v41, v25 :: v_dual_fma_f32 v27, -v27, v52, v28
	v_dual_mul_f32 v53, v45, v49 :: v_dual_mul_f32 v55, v19, v51
	v_div_scale_f32 v28, s5, v5, v43, v5
	s_delay_alu instid0(VALU_DEP_4) | instskip(SKIP_1) | instid1(VALU_DEP_3)
	v_dual_fmac_f32 v40, v29, v40 :: v_dual_fmac_f32 v54, v46, v42
	s_mov_b32 vcc_lo, s0
	v_fma_f32 v25, -v39, v53, v45
	v_div_fmas_f32 v20, v20, v32, v41
	s_delay_alu instid0(VALU_DEP_3) | instskip(SKIP_3) | instid1(VALU_DEP_2)
	v_mul_f32_e32 v32, v28, v40
	v_div_fixup_f32 v13, v13, v15, v34
	v_dual_fma_f32 v41, -v48, v55, v19 :: v_dual_mov_b32 v29, v18
	v_dual_fma_f32 v36, -v36, v54, v38 :: v_dual_fmac_f32 v53, v25, v49
	v_dual_fma_f32 v25, -v50, v32, v28 :: v_dual_fmac_f32 v55, v41, v51
	v_div_fixup_f32 v20, v20, v15, v30
	v_dual_mov_b32 v30, v11 :: v_dual_add_f32 v31, v13, v31
	s_delay_alu instid0(VALU_DEP_4) | instskip(NEXT) | instid1(VALU_DEP_4)
	v_dual_fma_f32 v34, -v39, v53, v45 :: v_dual_mov_b32 v13, v10
	v_dual_fmac_f32 v32, v25, v40 :: v_dual_fma_f32 v38, -v48, v55, v19
	s_delay_alu instid0(VALU_DEP_3)
	v_mov_b32_dpp v39, v31 row_ror:8 row_mask:0xf bank_mask:0xf
	v_add_f32_e32 v25, v14, v20
	s_mov_b32 vcc_lo, s3
	v_dual_mov_b32 v24, v15 :: v_dual_mov_b32 v26, v15
	v_div_fmas_f32 v34, v34, v49, v53
	v_dual_sub_f32 v20, v31, v39 :: v_dual_fma_f32 v41, -v50, v32, v28
	v_mul_f32_e32 v28, v25, v18
	s_mov_b32 vcc_lo, s1
	v_mov_b32_dpp v19, v25 row_ror:8 row_mask:0xf bank_mask:0xf
	v_div_fmas_f32 v27, v27, v33, v52
	s_mov_b32 vcc_lo, s5
	v_div_fixup_f32 v34, v34, v10, v17
	v_div_fmas_f32 v40, v41, v40, v32
	s_mov_b32 vcc_lo, s2
	v_pk_mul_f32 v[32:33], v[14:15], v[18:19]
	v_div_fixup_f32 v32, v27, v15, v16
	v_div_fmas_f32 v27, v36, v42, v54
	s_mov_b32 vcc_lo, s4
	v_pk_fma_f32 v[16:17], v[12:13], v[18:19], v[30:31] neg_lo:[1,0,0] neg_hi:[1,0,0]
	v_pk_add_f32 v[30:31], v[24:25], v[18:19]
	v_div_fmas_f32 v12, v38, v51, v55
	v_dual_mul_f32 v38, v20, v20 :: v_dual_mul_f32 v41, v15, v20
	v_dual_add_f32 v34, v35, v34 :: v_dual_mov_b32 v14, v33
	v_div_fixup_f32 v5, v40, v43, v5
	s_delay_alu instid0(VALU_DEP_4) | instskip(NEXT) | instid1(VALU_DEP_4)
	v_div_fixup_f32 v9, v12, v10, v9
	v_mul_f32_e32 v10, v20, v38
	s_delay_alu instid0(VALU_DEP_4)
	v_add_f32_e32 v12, v32, v34
	v_div_fixup_f32 v40, v27, v15, v8
	v_add_f32_e32 v32, v37, v5
	v_div_scale_f32 v37, null, v30, v30, v41
	ds_swizzle_b32 v8, v30 offset:swizzle(BROADCAST,32,15)
	v_pk_fma_f32 v[16:17], v[22:23], v[22:23], v[16:17]
	v_dual_mul_f32 v22, v38, v18 :: v_dual_add_f32 v9, v9, v32
	v_rcp_f32_e32 v45, v37
	v_mul_f32_e32 v5, v10, v18
	v_pk_add_f32 v[28:29], v[28:29], v[14:15] neg_lo:[0,1] neg_hi:[0,1]
	v_mul_f32_e32 v34, v20, v10
	v_dual_add_f32 v9, v40, v9 :: v_dual_mov_b32 v27, v30
	v_mov_b32_e32 v23, v30
	s_delay_alu instid0(TRANS32_DEP_1)
	v_fma_f32 v32, -v37, v45, 1.0
	v_mul_f32_e32 v43, v15, v22
	v_pk_mul_f32 v[14:15], v[20:21], v[4:5]
	v_mov_b32_e32 v21, v38
	v_mov_b32_dpp v10, v12 row_ror:8 row_mask:0xf bank_mask:0xf
	v_mov_b32_e32 v5, v30
	v_mul_f32_e32 v22, v34, v18
	v_pk_mul_f32 v[14:15], v[14:15], v[28:29]
	v_mov_b32_dpp v28, v9 row_ror:8 row_mask:0xf bank_mask:0xf
	v_add_f32_e32 v40, v12, v10
	v_pk_mul_f32 v[10:11], v[24:25], v[10:11]
	v_fmac_f32_e32 v45, v32, v45
	v_div_scale_f32 v38, null, v30, v30, v43
	s_wait_dscnt 0x0
	v_mov_b32_e32 v32, v8
	v_pk_fma_f32 v[24:25], v[12:13], v[18:19], v[10:11] neg_lo:[0,0,1] neg_hi:[0,0,1]
	v_pk_fma_f32 v[10:11], v[12:13], v[18:19], v[10:11]
	v_pk_mul_f32 v[12:13], v[26:27], v[22:23]
	v_rcp_f32_e32 v18, v38
	v_dual_mov_b32 v36, v30 :: v_dual_mov_b32 v17, v30
	v_div_scale_f32 v42, vcc_lo, v41, v30, v41
	v_pk_mul_f32 v[20:21], v[20:21], v[2:3]
	v_dual_mov_b32 v19, v8 :: v_dual_mov_b32 v25, v11
	v_add_f32_e32 v22, v9, v28
	v_div_scale_f32 v9, null, v13, v13, v15
	v_pk_mul_f32 v[10:11], v[16:17], v[12:13]
	v_dual_mov_b32 v34, v13 :: v_dual_mul_f32 v27, v42, v45
	v_fma_f32 v28, -v38, v18, 1.0
	v_div_scale_f32 v23, null, v30, v30, v14
	v_pk_mul_f32 v[16:17], v[20:21], v[24:25]
	v_rcp_f32_e32 v20, v9
	v_div_scale_f32 v24, null, v11, v11, v10
	v_div_scale_f32 v46, s0, v43, v30, v43
	v_fma_f32 v29, -v37, v27, v42
	v_fmac_f32_e32 v18, v28, v18
	v_rcp_f32_e32 v21, v23
	v_rcp_f32_e32 v28, v24
	v_fma_f32 v52, -v9, v20, 1.0
	s_delay_alu instid0(VALU_DEP_2) | instskip(SKIP_2) | instid1(TRANS32_DEP_2)
	v_dual_fmac_f32 v27, v29, v45 :: v_dual_mul_f32 v29, v46, v18
	v_div_scale_f32 v48, null, v30, v30, v16
	v_div_scale_f32 v50, null, v13, v13, v17
	v_fma_f32 v53, -v23, v21, 1.0
	v_div_scale_f32 v12, s1, v15, v13, v15
	v_dual_fma_f32 v37, -v37, v27, v42 :: v_dual_fmac_f32 v20, v52, v20
	v_fma_f32 v42, -v38, v29, v46
	v_rcp_f32_e32 v54, v48
	v_rcp_f32_e32 v55, v50
	v_fma_f32 v52, -v24, v28, 1.0
	v_div_scale_f32 v26, s2, v14, v30, v14
	v_fmac_f32_e32 v21, v53, v21
	v_div_fmas_f32 v27, v37, v45, v27
	v_dual_mul_f32 v37, v12, v20 :: v_dual_fmac_f32 v29, v42, v18
	v_div_scale_f32 v25, s3, v10, v11, v10
	s_delay_alu instid0(VALU_DEP_4)
	v_dual_fmac_f32 v28, v52, v28 :: v_dual_mul_f32 v42, v26, v21
	v_fma_f32 v45, -v48, v54, 1.0
	v_fma_f32 v52, -v50, v55, 1.0
	v_div_fixup_f32 v27, v27, v30, v41
	v_fma_f32 v41, -v9, v37, v12
	v_dual_fma_f32 v38, -v38, v29, v46 :: v_dual_mul_f32 v53, v25, v28
	v_div_scale_f32 v49, s4, v16, v30, v16
	v_div_scale_f32 v51, s5, v17, v13, v17
	s_delay_alu instid0(VALU_DEP_4) | instskip(SKIP_3) | instid1(VALU_DEP_3)
	v_dual_fma_f32 v46, -v23, v42, v26 :: v_dual_fmac_f32 v37, v41, v20
	v_dual_fmac_f32 v54, v45, v54 :: v_dual_add_f32 v27, v27, v39
	v_fmac_f32_e32 v55, v52, v55
	s_mov_b32 vcc_lo, s0
	v_fmac_f32_e32 v42, v46, v21
	v_div_fmas_f32 v18, v38, v18, v29
	s_delay_alu instid0(VALU_DEP_3) | instskip(SKIP_1) | instid1(VALU_DEP_4)
	v_dual_fma_f32 v29, -v24, v53, v25 :: v_dual_mul_f32 v39, v51, v55
	v_mul_f32_e32 v38, v49, v54
	v_dual_fma_f32 v9, -v9, v37, v12 :: v_dual_fma_f32 v12, -v23, v42, v26
	s_delay_alu instid0(VALU_DEP_4) | instskip(NEXT) | instid1(VALU_DEP_4)
	v_div_fixup_f32 v18, v18, v30, v43
	v_dual_fmac_f32 v53, v29, v28 :: v_dual_fma_f32 v26, -v50, v39, v51
	ds_swizzle_b32 v29, v27 offset:swizzle(BROADCAST,32,15)
	v_fma_f32 v23, -v48, v38, v49
	s_mov_b32 vcc_lo, s1
	v_dual_add_f32 v41, v31, v18 :: v_dual_fma_f32 v18, -v24, v53, v25
	v_div_fmas_f32 v9, v9, v20, v37
	s_delay_alu instid0(VALU_DEP_3) | instskip(SKIP_2) | instid1(VALU_DEP_3)
	v_dual_fmac_f32 v39, v26, v55 :: v_dual_fmac_f32 v38, v23, v54
	s_mov_b32 vcc_lo, s2
	v_dual_mov_b32 v33, v30 :: v_dual_mov_b32 v35, v30
	v_div_fixup_f32 v15, v9, v13, v15
	ds_swizzle_b32 v9, v41 offset:swizzle(BROADCAST,32,15)
	v_div_fmas_f32 v12, v12, v21, v42
	s_mov_b32 vcc_lo, s3
	v_fma_f32 v21, -v50, v39, v51
	v_div_fmas_f32 v18, v18, v28, v53
	v_fma_f32 v20, -v48, v38, v49
	v_div_fixup_f32 v12, v12, v30, v14
	v_add_f32_e32 v14, v40, v15
	s_mov_b32 vcc_lo, s4
	v_div_fixup_f32 v11, v18, v11, v10
	v_mul_f32_e32 v18, v41, v8
	v_div_fmas_f32 v15, v20, v54, v38
	s_mov_b32 vcc_lo, s5
	s_wait_dscnt 0x1
	v_sub_f32_e32 v10, v27, v29
	v_div_fmas_f32 v20, v21, v55, v39
	v_dual_add_f32 v12, v12, v14 :: v_dual_add_f32 v11, v22, v11
	v_div_fixup_f32 v15, v15, v30, v16
	s_delay_alu instid0(VALU_DEP_4) | instskip(NEXT) | instid1(VALU_DEP_4)
	v_mul_f32_e32 v24, v30, v10
	v_div_fixup_f32 v17, v20, v13, v17
	ds_swizzle_b32 v14, v12 offset:swizzle(BROADCAST,32,15)
	s_wait_dscnt 0x1
	v_dual_mul_f32 v23, v10, v10 :: v_dual_mov_b32 v20, v9
	v_add_f32_e32 v11, v17, v11
	v_pk_mul_f32 v[16:17], v[32:33], v[8:9] op_sel_hi:[1,0]
	s_delay_alu instid0(VALU_DEP_3) | instskip(NEXT) | instid1(VALU_DEP_4)
	v_dual_mul_f32 v25, v10, v23 :: v_dual_mul_f32 v26, v23, v8
	v_pk_mul_f32 v[20:21], v[30:31], v[20:21]
	s_delay_alu instid0(VALU_DEP_3) | instskip(NEXT) | instid1(VALU_DEP_3)
	v_dual_add_f32 v27, v15, v11 :: v_dual_mov_b32 v22, v17
	v_dual_mul_f32 v28, v10, v25 :: v_dual_mul_f32 v11, v25, v8
	v_dual_mov_b32 v15, v16 :: v_dual_mov_b32 v21, v30
	s_delay_alu instid0(VALU_DEP_3) | instskip(SKIP_1) | instid1(VALU_DEP_4)
	v_pk_fma_f32 v[16:17], v[32:33], v[8:9], v[22:23] op_sel_hi:[1,0,1] neg_lo:[0,0,1] neg_hi:[0,0,1]
	v_dual_mul_f32 v26, v30, v26 :: v_dual_mov_b32 v31, v41
	v_pk_mul_f32 v[4:5], v[4:5], v[10:11]
	v_dual_mov_b32 v17, v8 :: v_dual_mov_b32 v11, v23
	v_pk_add_f32 v[18:19], v[18:19], v[20:21] neg_lo:[0,1] neg_hi:[0,1]
	s_wait_dscnt 0x0
	v_pk_mul_f32 v[20:21], v[30:31], v[14:15]
	ds_swizzle_b32 v25, v27 offset:swizzle(BROADCAST,32,15)
	v_pk_add_f32 v[16:17], v[34:35], v[16:17]
	v_mul_f32_e32 v22, v28, v8
	v_pk_mul_f32 v[4:5], v[4:5], v[18:19]
	v_pk_mul_f32 v[2:3], v[10:11], v[2:3]
	v_pk_fma_f32 v[10:11], v[12:13], v[8:9], v[20:21] neg_lo:[0,0,1] neg_hi:[0,0,1]
	v_pk_fma_f32 v[18:19], v[12:13], v[8:9], v[20:21]
	v_mov_b32_e32 v37, v17
	v_div_scale_f32 v8, null, v17, v17, v24
	v_div_scale_f32 v15, null, v17, v17, v26
	s_delay_alu instid0(VALU_DEP_4) | instskip(SKIP_1) | instid1(VALU_DEP_4)
	v_dual_mov_b32 v23, v17 :: v_dual_mov_b32 v11, v19
	v_div_scale_f32 v21, null, v17, v17, v4
	v_rcp_f32_e32 v30, v8
	s_delay_alu instid0(VALU_DEP_2) | instskip(SKIP_1) | instid1(VALU_DEP_2)
	v_pk_mul_f32 v[18:19], v[36:37], v[22:23]
	v_rcp_f32_e32 v22, v15
	v_rcp_f32_e32 v23, v21
	v_pk_mul_f32 v[2:3], v[2:3], v[10:11]
	v_div_scale_f32 v13, vcc_lo, v24, v17, v24
	v_div_scale_f32 v31, null, v19, v19, v5
	v_pk_mul_f32 v[10:11], v[16:17], v[18:19]
	v_fma_f32 v16, -v8, v30, 1.0
	v_fma_f32 v18, -v15, v22, 1.0
	;; [unrolled: 1-line block ×3, first 2 shown]
	v_div_scale_f32 v34, null, v17, v17, v2
	v_rcp_f32_e32 v37, v31
	v_div_scale_f32 v20, s0, v26, v17, v26
	v_div_scale_f32 v28, s1, v4, v17, v4
	v_dual_fmac_f32 v30, v16, v30 :: v_dual_fmac_f32 v23, v33, v23
	v_fmac_f32_e32 v22, v18, v22
	v_div_scale_f32 v36, null, v19, v19, v3
	v_div_scale_f32 v38, null, v11, v11, v10
	v_rcp_f32_e32 v16, v34
	v_fma_f32 v43, -v31, v37, 1.0
	v_dual_mul_f32 v40, v13, v30 :: v_dual_mul_f32 v45, v28, v23
	v_mul_f32_e32 v42, v20, v22
	v_rcp_f32_e32 v18, v36
	v_rcp_f32_e32 v33, v38
	s_delay_alu instid0(TRANS32_DEP_3)
	v_fma_f32 v46, -v34, v16, 1.0
	v_fmac_f32_e32 v37, v43, v37
	v_dual_fma_f32 v43, -v21, v45, v28 :: v_dual_fma_f32 v49, -v8, v40, v13
	v_fma_f32 v50, -v15, v42, v20
	v_div_scale_f32 v32, s2, v5, v19, v5
	v_div_scale_f32 v35, s3, v2, v17, v2
	v_fma_f32 v48, -v36, v18, 1.0
	v_fma_f32 v51, -v38, v33, 1.0
	v_fmac_f32_e32 v16, v46, v16
	v_dual_fmac_f32 v40, v49, v30 :: v_dual_mul_f32 v46, v32, v37
	v_dual_fmac_f32 v42, v50, v22 :: v_dual_fmac_f32 v45, v43, v23
	v_div_scale_f32 v39, s4, v10, v11, v10
	s_delay_alu instid0(VALU_DEP_4) | instskip(NEXT) | instid1(VALU_DEP_3)
	v_dual_fmac_f32 v18, v48, v18 :: v_dual_mul_f32 v43, v35, v16
	v_dual_fma_f32 v8, -v8, v40, v13 :: v_dual_fma_f32 v13, -v15, v42, v20
	s_delay_alu instid0(VALU_DEP_4) | instskip(NEXT) | instid1(VALU_DEP_3)
	v_fma_f32 v20, -v21, v45, v28
	v_dual_fmac_f32 v33, v51, v33 :: v_dual_fma_f32 v28, -v34, v43, v35
	v_fma_f32 v15, -v31, v46, v32
	s_delay_alu instid0(VALU_DEP_4) | instskip(SKIP_1) | instid1(VALU_DEP_3)
	v_div_fmas_f32 v8, v8, v30, v40
	s_mov_b32 vcc_lo, s0
	v_mul_f32_e32 v21, v39, v33
	v_div_fmas_f32 v13, v13, v22, v42
	v_fmac_f32_e32 v46, v15, v37
	s_mov_b32 vcc_lo, s2
	v_fmac_f32_e32 v43, v28, v16
	v_fma_f32 v15, -v38, v21, v39
	v_add_f32_e32 v9, v41, v9
	v_div_fixup_f32 v8, v8, v17, v24
	s_delay_alu instid0(VALU_DEP_3) | instskip(SKIP_1) | instid1(VALU_DEP_1)
	v_fmac_f32_e32 v21, v15, v33
	v_div_scale_f32 v15, s0, v3, v19, v3
	v_mul_f32_e32 v30, v15, v18
	v_fma_f32 v22, -v31, v46, v32
	s_delay_alu instid0(VALU_DEP_2) | instskip(NEXT) | instid1(VALU_DEP_2)
	v_fma_f32 v31, -v36, v30, v15
	v_div_fmas_f32 v22, v22, v37, v46
	s_mov_b32 vcc_lo, s1
	v_div_fmas_f32 v20, v20, v23, v45
	v_fma_f32 v23, -v38, v21, v39
	s_mov_b32 vcc_lo, s4
	v_fmac_f32_e32 v30, v31, v18
	v_div_fixup_f32 v5, v22, v19, v5
	v_div_fixup_f32 v4, v20, v17, v4
	v_div_fmas_f32 v21, v23, v33, v21
	s_wait_dscnt 0x0
	v_dual_add_f32 v23, v27, v25 :: v_dual_fma_f32 v25, -v34, v43, v35
	s_mov_b32 vcc_lo, s3
	s_delay_alu instid0(VALU_DEP_2) | instskip(SKIP_1) | instid1(VALU_DEP_3)
	v_div_fixup_f32 v10, v21, v11, v10
	v_fma_f32 v11, -v36, v30, v15
	v_div_fmas_f32 v15, v25, v16, v43
	s_mov_b32 vcc_lo, s0
	s_mov_b32 s0, exec_lo
	v_add_f32_e32 v10, v23, v10
	v_div_fmas_f32 v11, v11, v18, v30
	v_div_fixup_f32 v2, v15, v17, v2
	v_cmp_gt_f32_e32 vcc_lo, v7, v47
	s_delay_alu instid0(VALU_DEP_3) | instskip(SKIP_2) | instid1(VALU_DEP_3)
	v_div_fixup_f32 v3, v11, v19, v3
	v_div_fixup_f32 v11, v13, v17, v26
	v_cndmask_b32_e32 v7, v47, v7, vcc_lo
	v_dual_add_f32 v3, v3, v10 :: v_dual_add_f32 v10, v8, v29
	v_add_f32_e32 v12, v12, v14
	ds_bpermute_b32 v8, v6, v44 offset:124
	v_add_f32_e32 v2, v2, v3
	ds_bpermute_b32 v14, v6, v10 offset:124
	v_dual_add_f32 v5, v12, v5 :: v_dual_add_f32 v12, v9, v11
	ds_bpermute_b32 v11, v6, v17 offset:124
	ds_bpermute_b32 v9, v6, v7 offset:124
	;; [unrolled: 1-line block ×3, first 2 shown]
	v_add_f32_e32 v4, v4, v5
	ds_bpermute_b32 v12, v6, v12 offset:124
	ds_bpermute_b32 v13, v6, v4 offset:124
	v_cmpx_eq_u32_e32 0, v1
	s_cbranch_execz .LBB27_95
; %bb.94:
	v_lshrrev_b32_e32 v2, 5, v0
	s_delay_alu instid0(VALU_DEP_1)
	v_mul_u32_u24_e32 v2, 28, v2
	s_wait_dscnt 0x4
	ds_store_2addr_b32 v2, v11, v8 offset0:56 offset1:57
	s_wait_dscnt 0x4
	ds_store_2addr_b32 v2, v9, v14 offset0:58 offset1:59
	;; [unrolled: 2-line block ×3, first 2 shown]
	ds_store_b32 v2, v10 offset:248
.LBB27_95:
	s_or_b32 exec_lo, exec_lo, s0
	s_delay_alu instid0(SALU_CYCLE_1)
	s_mov_b32 s19, exec_lo
	s_wait_dscnt 0x0
	s_barrier_signal -1
	s_barrier_wait -1
	v_cmpx_gt_u32_e32 32, v0
	s_cbranch_execz .LBB27_97
; %bb.96:
	v_and_b32_e32 v14, 7, v1
	s_delay_alu instid0(VALU_DEP_1) | instskip(SKIP_1) | instid1(VALU_DEP_1)
	v_cmp_ne_u32_e32 vcc_lo, 7, v14
	v_add_co_ci_u32_e64 v3, null, 0, v1, vcc_lo
	v_lshlrev_b32_e32 v16, 2, v3
	v_mul_u32_u24_e32 v2, 28, v14
	v_cmp_gt_u32_e32 vcc_lo, 6, v14
	ds_load_2addr_b32 v[4:5], v2 offset0:56 offset1:59
	ds_load_b32 v19, v2 offset:248
	ds_load_2addr_b32 v[6:7], v2 offset0:57 offset1:58
	v_lshlrev_b32_e32 v15, 2, v1
	v_cndmask_b32_e64 v17, 0, 2, vcc_lo
	ds_load_2addr_b32 v[10:11], v2 offset0:60 offset1:61
	v_mov_b64_e32 v[2:3], 0x40c0000040800000
	v_add_lshl_u32 v39, v17, v1, 2
	s_wait_dscnt 0x2
	ds_bpermute_b32 v22, v16, v19
	ds_bpermute_b32 v9, v16, v4
	;; [unrolled: 1-line block ×3, first 2 shown]
	v_dual_mov_b32 v12, v5 :: v_dual_mov_b32 v13, v4
	v_or_b32_e32 v38, 16, v15
	s_wait_dscnt 0x4
	ds_bpermute_b32 v25, v16, v7
	ds_bpermute_b32 v28, v16, v6
	v_mov_b32_e32 v18, v5
	s_wait_dscnt 0x5
	ds_bpermute_b32 v21, v16, v10
	ds_bpermute_b32 v20, v16, v11
	v_dual_mov_b32 v16, v4 :: v_dual_mov_b32 v23, v10
	s_wait_dscnt 0x5
	v_dual_mov_b32 v24, v9 :: v_dual_sub_f32 v40, v4, v9
	s_wait_dscnt 0x4
	v_pk_add_f32 v[14:15], v[8:9], v[12:13] neg_lo:[0,1] neg_hi:[0,1]
	v_mul_f32_e32 v17, v4, v4
	v_pk_add_f32 v[12:13], v[12:13], v[8:9]
	s_wait_dscnt 0x3
	v_cmp_lt_f32_e32 vcc_lo, v7, v25
	v_pk_mul_f32 v[26:27], v[8:9], v[8:9]
	v_dual_mul_f32 v32, v14, v9 :: v_dual_add_f32 v41, v19, v22
	v_fma_f32 v5, -v4, v9, v17
	v_cndmask_b32_e32 v42, v7, v25, vcc_lo
	s_wait_dscnt 0x2
	v_cmp_lt_f32_e32 vcc_lo, v28, v6
	v_div_scale_f32 v34, null, v13, v13, v32
	v_dual_mov_b32 v26, v9 :: v_dual_add_f32 v44, v27, v5
	v_cndmask_b32_e32 v43, v6, v28, vcc_lo
	s_delay_alu instid0(VALU_DEP_3)
	v_rcp_f32_e32 v35, v34
	v_div_scale_f32 v19, vcc_lo, v32, v13, v32
	ds_bpermute_b32 v12, v39, v13
	s_wait_dscnt 0x1
	v_dual_add_f32 v22, v11, v20 :: v_dual_mov_b32 v28, v21
	v_dual_mov_b32 v29, v14 :: v_dual_mov_b32 v25, v13
	v_fma_f32 v7, -v34, v35, 1.0
	v_dual_mov_b32 v15, v4 :: v_dual_mul_f32 v6, 0x40400000, v14
	v_mov_b32_e32 v33, v13
	v_pk_mul_f32 v[26:27], v[10:11], v[26:27] op_sel:[1,0] op_sel_hi:[0,1]
	s_delay_alu instid0(VALU_DEP_4)
	v_dual_fmac_f32 v35, v7, v35 :: v_dual_mov_b32 v7, v9
	v_mov_b32_e32 v30, v9
	ds_bpermute_b32 v46, v39, v42
	v_pk_fma_f32 v[16:17], v[16:17], v[20:21], v[26:27]
	v_dual_mul_f32 v36, v19, v35 :: v_dual_mov_b32 v8, v13
	ds_bpermute_b32 v45, v39, v43
	v_fma_f32 v5, -v34, v36, v19
	s_delay_alu instid0(VALU_DEP_1) | instskip(NEXT) | instid1(VALU_DEP_1)
	v_dual_fmac_f32 v36, v5, v35 :: v_dual_mov_b32 v5, v14
	v_dual_mov_b32 v31, v13 :: v_dual_fma_f32 v19, -v34, v36, v19
	v_mov_b32_e32 v34, v13
	s_delay_alu instid0(VALU_DEP_3) | instskip(NEXT) | instid1(VALU_DEP_3)
	v_pk_mul_f32 v[28:29], v[4:5], v[28:29]
	v_div_fmas_f32 v35, v19, v35, v36
	s_wait_dscnt 0x2
	v_mov_b32_e32 v19, v12
	v_pk_fma_f32 v[36:37], v[4:5], v[20:21], v[26:27] neg_lo:[0,0,1] neg_hi:[0,0,1]
	v_mul_f32_e32 v5, v14, v29
	v_pk_mul_f32 v[26:27], v[28:29], v[14:15]
	v_div_fixup_f32 v32, v35, v13, v32
	v_pk_fma_f32 v[10:11], v[10:11], v[24:25], v[28:29] neg_lo:[1,0,0] neg_hi:[1,0,0]
	s_delay_alu instid0(VALU_DEP_4) | instskip(NEXT) | instid1(VALU_DEP_4)
	v_dual_mov_b32 v15, v29 :: v_dual_mul_f32 v24, v4, v5
	v_mov_b32_e32 v11, v27
	s_delay_alu instid0(VALU_DEP_4) | instskip(SKIP_1) | instid1(VALU_DEP_4)
	v_pk_add_f32 v[18:19], v[18:19], v[32:33]
	v_dual_mov_b32 v37, v17 :: v_dual_mul_f32 v20, v14, v5
	v_pk_mul_f32 v[14:15], v[14:15], v[2:3]
	v_pk_mul_f32 v[24:25], v[24:25], v[30:31]
	ds_bpermute_b32 v27, v39, v18
	v_pk_mul_f32 v[16:17], v[12:13], v[12:13] op_sel_hi:[1,0]
	v_pk_mul_f32 v[6:7], v[10:11], v[6:7]
	v_dual_mul_f32 v10, v4, v20 :: v_dual_mul_f32 v29, v13, v25
	v_pk_mul_f32 v[4:5], v[14:15], v[36:37]
	s_delay_alu instid0(VALU_DEP_4)
	v_dual_sub_f32 v11, v25, v17 :: v_dual_mul_f32 v17, v40, v24
	s_wait_dscnt 0x2
	v_cmp_lt_f32_e32 vcc_lo, v42, v46
	v_dual_sub_f32 v28, v13, v12 :: v_dual_mov_b32 v26, v12
	v_div_scale_f32 v20, null, v13, v13, v7
	v_cndmask_b32_e32 v42, v42, v46, vcc_lo
	s_wait_dscnt 0x1
	v_cmp_lt_f32_e32 vcc_lo, v45, v43
	v_mul_f32_e32 v9, v10, v9
	v_div_scale_f32 v30, null, v13, v13, v6
	v_rcp_f32_e32 v35, v20
	v_cndmask_b32_e32 v43, v43, v45, vcc_lo
	s_wait_dscnt 0x0
	v_dual_sub_f32 v14, v27, v18 :: v_dual_add_f32 v31, v16, v11
	v_mov_b32_e32 v11, v19
	v_div_scale_f32 v32, null, v25, v25, v5
	s_delay_alu instid0(VALU_DEP_3) | instskip(SKIP_2) | instid1(VALU_DEP_3)
	v_dual_mul_f32 v15, v14, v14 :: v_dual_mul_f32 v37, v44, v9
	v_mul_f32_e32 v45, v14, v12
	v_div_scale_f32 v33, null, v25, v25, v17
	v_dual_mul_f32 v10, v14, v15 :: v_dual_mov_b32 v9, v19
	s_delay_alu instid0(VALU_DEP_3) | instskip(SKIP_1) | instid1(VALU_DEP_2)
	v_div_scale_f32 v47, null, v19, v19, v45
	v_rcp_f32_e32 v36, v30
	v_dual_mul_f32 v27, v13, v10 :: v_dual_mul_f32 v10, v14, v10
	v_rcp_f32_e32 v40, v32
	v_rcp_f32_e32 v44, v33
	v_div_scale_f32 v24, s0, v7, v13, v7
	s_delay_alu instid0(VALU_DEP_2)
	v_mul_f32_e32 v46, v27, v12
	v_mov_b32_e32 v27, v19
	v_pk_mul_f32 v[8:9], v[8:9], v[10:11]
	v_rcp_f32_e32 v11, v47
	v_fma_f32 v10, -v20, v35, 1.0
	v_mul_f32_e32 v46, v28, v46
	v_fma_f32 v28, -v30, v36, 1.0
	v_pk_mul_f32 v[26:27], v[8:9], v[26:27]
	v_fma_f32 v48, -v32, v40, 1.0
	v_fmac_f32_e32 v35, v10, v35
	v_div_scale_f32 v8, null, v9, v9, v46
	v_fma_f32 v50, -v47, v11, 1.0
	v_mul_f32_e32 v51, v31, v26
	v_div_scale_f32 v31, vcc_lo, v45, v19, v45
	s_delay_alu instid0(VALU_DEP_4) | instskip(NEXT) | instid1(VALU_DEP_3)
	v_rcp_f32_e32 v26, v8
	v_fmac_f32_e32 v11, v50, v11
	s_delay_alu instid0(VALU_DEP_3) | instskip(SKIP_3) | instid1(TRANS32_DEP_1)
	v_div_scale_f32 v50, null, v27, v27, v51
	v_fma_f32 v49, -v33, v44, 1.0
	v_fmac_f32_e32 v36, v28, v36
	v_div_scale_f32 v53, s1, v46, v9, v46
	v_fma_f32 v10, -v8, v26, 1.0
	v_rcp_f32_e32 v52, v50
	v_dual_mul_f32 v28, v31, v11 :: v_dual_fmac_f32 v44, v49, v44
	v_div_scale_f32 v54, s2, v51, v27, v51
	s_delay_alu instid0(VALU_DEP_3) | instskip(NEXT) | instid1(VALU_DEP_3)
	v_dual_fmac_f32 v26, v10, v26 :: v_dual_fmac_f32 v40, v48, v40
	v_fma_f32 v10, -v47, v28, v31
	s_delay_alu instid0(TRANS32_DEP_1) | instskip(SKIP_1) | instid1(VALU_DEP_3)
	v_fma_f32 v48, -v50, v52, 1.0
	v_div_scale_f32 v57, null, v13, v13, v4
	v_dual_mul_f32 v49, v53, v26 :: v_dual_fmac_f32 v28, v10, v11
	s_delay_alu instid0(VALU_DEP_3) | instskip(SKIP_1) | instid1(VALU_DEP_3)
	v_fmac_f32_e32 v52, v48, v52
	v_div_scale_f32 v48, s3, v6, v13, v6
	v_fma_f32 v10, -v8, v49, v53
	v_div_scale_f32 v55, s4, v5, v25, v5
	s_delay_alu instid0(VALU_DEP_2) | instskip(NEXT) | instid1(VALU_DEP_1)
	v_dual_fmac_f32 v49, v10, v26 :: v_dual_fma_f32 v31, -v47, v28, v31
	v_dual_mul_f32 v47, v54, v52 :: v_dual_fma_f32 v8, -v8, v49, v53
	s_delay_alu instid0(VALU_DEP_2) | instskip(NEXT) | instid1(VALU_DEP_2)
	v_div_fmas_f32 v56, v31, v11, v28
	v_fma_f32 v10, -v50, v47, v54
	v_div_scale_f32 v11, s5, v17, v25, v17
	s_mov_b32 vcc_lo, s1
	v_rcp_f32_e32 v53, v57
	v_dual_fmac_f32 v47, v10, v52 :: v_dual_mul_f32 v10, v24, v35
	v_div_fmas_f32 v49, v8, v26, v49
	v_mul_f32_e32 v8, v48, v36
	s_delay_alu instid0(VALU_DEP_3) | instskip(NEXT) | instid1(VALU_DEP_4)
	v_dual_mul_f32 v28, v11, v44 :: v_dual_fma_f32 v26, -v50, v47, v54
	v_fma_f32 v31, -v20, v10, v24
	s_mov_b32 vcc_lo, s2
	s_delay_alu instid0(VALU_DEP_2) | instskip(NEXT) | instid1(VALU_DEP_2)
	v_div_fmas_f32 v47, v26, v52, v47
	v_dual_fma_f32 v26, -v30, v8, v48 :: v_dual_fmac_f32 v10, v31, v35
	v_fma_f32 v50, -v33, v28, v11
	v_fma_f32 v31, -v57, v53, 1.0
	v_div_scale_f32 v52, s1, v4, v13, v4
	s_delay_alu instid0(VALU_DEP_4) | instskip(NEXT) | instid1(VALU_DEP_3)
	v_fma_f32 v20, -v20, v10, v24
	v_dual_fmac_f32 v28, v50, v44 :: v_dual_fmac_f32 v53, v31, v53
	v_fmac_f32_e32 v8, v26, v36
	v_div_scale_f32 v26, null, v29, v29, v37
	s_delay_alu instid0(VALU_DEP_3) | instskip(SKIP_2) | instid1(VALU_DEP_3)
	v_fma_f32 v11, -v33, v28, v11
	s_mov_b32 vcc_lo, s5
	v_div_scale_f32 v24, s2, v37, v29, v37
	v_rcp_f32_e32 v33, v26
	s_delay_alu instid0(VALU_DEP_2)
	v_div_fmas_f32 v11, v11, v44, v28
	v_dual_mul_f32 v28, v13, v15 :: v_dual_fma_f32 v30, -v30, v8, v48
	s_mov_b32 vcc_lo, s0
	v_mul_f32_e32 v44, v52, v53
	v_div_fmas_f32 v10, v20, v35, v10
	s_mov_b32 vcc_lo, s3
	v_div_fixup_f32 v20, v11, v25, v17
	v_div_fmas_f32 v8, v30, v36, v8
	s_mov_b32 vcc_lo, s2
	v_div_fixup_f32 v7, v10, v13, v7
	s_delay_alu instid0(VALU_DEP_3) | instskip(NEXT) | instid1(VALU_DEP_3)
	v_pk_add_f32 v[10:11], v[22:23], v[20:21]
	v_div_fixup_f32 v6, v8, v13, v6
	v_fma_f32 v8, -v26, v33, 1.0
	ds_bpermute_b32 v23, v38, v19
	v_div_fixup_f32 v22, v56, v19, v45
	v_pk_add_f32 v[6:7], v[6:7], v[10:11]
	v_dual_fmac_f32 v33, v8, v33 :: v_dual_mul_f32 v17, v55, v40
	v_fma_f32 v10, -v57, v44, v52
	v_mul_f32_e32 v28, v28, v12
	ds_bpermute_b32 v21, v39, v7
	v_mul_f32_e32 v20, v24, v33
	v_fma_f32 v8, -v32, v17, v55
	v_fmac_f32_e32 v44, v10, v53
	v_div_scale_f32 v36, null, v19, v19, v28
	s_delay_alu instid0(VALU_DEP_4) | instskip(NEXT) | instid1(VALU_DEP_4)
	v_dual_mov_b32 v31, v12 :: v_dual_fma_f32 v10, -v26, v20, v24
	v_fmac_f32_e32 v17, v8, v40
	s_delay_alu instid0(VALU_DEP_3) | instskip(SKIP_1) | instid1(VALU_DEP_3)
	v_rcp_f32_e32 v48, v36
	v_div_scale_f32 v54, s0, v28, v19, v28
	v_fmac_f32_e32 v20, v10, v33
	s_delay_alu instid0(VALU_DEP_3) | instskip(SKIP_2) | instid1(TRANS32_DEP_1)
	v_dual_fma_f32 v50, -v32, v17, v55 :: v_dual_mov_b32 v35, v7
	s_wait_dscnt 0x1
	v_pk_add_f32 v[10:11], v[18:19], v[22:23]
	v_fma_f32 v8, -v36, v48, 1.0
	v_mov_b32_e32 v22, v23
	ds_bpermute_b32 v55, v38, v43
	s_wait_dscnt 0x1
	v_dual_mov_b32 v30, v21 :: v_dual_fmac_f32 v48, v8, v48
	v_fma_f32 v8, -v57, v44, v52
	ds_bpermute_b32 v18, v38, v10
	ds_bpermute_b32 v52, v38, v42
	v_pk_mul_f32 v[30:31], v[34:35], v[30:31]
	v_mul_f32_e32 v57, v54, v48
	v_dual_fma_f32 v32, -v26, v20, v24 :: v_dual_mov_b32 v24, v13
	s_delay_alu instid0(VALU_DEP_3) | instskip(SKIP_1) | instid1(VALU_DEP_4)
	v_dual_mov_b32 v26, v19 :: v_dual_sub_f32 v30, v30, v31
	v_mul_f32_e32 v31, 0x40400000, v14
	v_fma_f32 v45, -v36, v57, v54
	s_delay_alu instid0(VALU_DEP_4)
	v_div_fmas_f32 v33, v32, v33, v20
	ds_bpermute_b32 v20, v39, v6
	s_mov_b32 vcc_lo, s4
	v_dual_mov_b32 v32, v19 :: v_dual_fmac_f32 v57, v45, v48
	v_div_fmas_f32 v17, v50, v40, v17
	s_mov_b32 vcc_lo, s1
	v_mul_f32_e32 v30, v31, v30
	v_div_fmas_f32 v31, v8, v53, v44
	v_fma_f32 v35, -v36, v57, v54
	v_div_fixup_f32 v5, v17, v25, v5
	v_pk_mul_f32 v[14:15], v[14:15], v[2:3]
	v_div_scale_f32 v34, null, v19, v19, v30
	v_div_fixup_f32 v31, v31, v13, v4
	s_wait_dscnt 0x2
	v_dual_mov_b32 v13, v16 :: v_dual_sub_f32 v4, v18, v10
	v_div_fixup_f32 v16, v33, v29, v37
	v_rcp_f32_e32 v36, v34
	v_mov_b32_e32 v18, v23
	s_delay_alu instid0(VALU_DEP_3)
	v_pk_mul_f32 v[12:13], v[6:7], v[12:13]
	s_wait_dscnt 0x0
	v_pk_add_f32 v[6:7], v[6:7], v[20:21]
	v_dual_add_f32 v29, v41, v16 :: v_dual_mul_f32 v37, v4, v23
	v_mov_b32_e32 v8, v19
	v_pk_fma_f32 v[16:17], v[24:25], v[20:21], v[12:13]
	v_pk_fma_f32 v[12:13], v[24:25], v[20:21], v[12:13] neg_lo:[0,0,1] neg_hi:[0,0,1]
	v_div_scale_f32 v16, vcc_lo, v30, v19, v30
	v_fma_f32 v33, -v34, v36, 1.0
	s_delay_alu instid0(VALU_DEP_4) | instskip(SKIP_3) | instid1(VALU_DEP_4)
	v_mov_b32_e32 v13, v17
	v_div_scale_f32 v25, null, v11, v11, v37
	v_div_fixup_f32 v17, v49, v9, v46
	v_pk_mul_f32 v[20:21], v[18:19], v[22:23] op_sel_hi:[1,0]
	v_pk_mul_f32 v[12:13], v[14:15], v[12:13]
	s_delay_alu instid0(VALU_DEP_4) | instskip(SKIP_1) | instid1(VALU_DEP_2)
	v_rcp_f32_e32 v40, v25
	v_dual_mov_b32 v22, v4 :: v_dual_sub_f32 v50, v19, v23
	v_div_scale_f32 v41, null, v19, v19, v12
	s_delay_alu instid0(VALU_DEP_3) | instskip(NEXT) | instid1(VALU_DEP_2)
	v_div_scale_f32 v44, null, v9, v9, v13
	v_rcp_f32_e32 v45, v41
	v_fmac_f32_e32 v36, v33, v36
	s_delay_alu instid0(VALU_DEP_2) | instskip(NEXT) | instid1(VALU_DEP_1)
	v_rcp_f32_e32 v46, v44
	v_dual_add_f32 v33, v6, v17 :: v_dual_mul_f32 v24, v16, v36
	v_add_f32_e32 v5, v5, v29
	s_delay_alu instid0(TRANS32_DEP_1) | instskip(NEXT) | instid1(VALU_DEP_2)
	v_fma_f32 v15, -v44, v46, 1.0
	v_dual_fma_f32 v14, -v34, v24, v16 :: v_dual_add_f32 v49, v31, v5
	s_delay_alu instid0(VALU_DEP_1) | instskip(SKIP_1) | instid1(VALU_DEP_2)
	v_dual_fmac_f32 v46, v15, v46 :: v_dual_fmac_f32 v24, v14, v36
	v_fma_f32 v14, -v25, v40, 1.0
	v_fma_f32 v6, -v34, v24, v16
	s_delay_alu instid0(VALU_DEP_2)
	v_fmac_f32_e32 v40, v14, v40
	v_fma_f32 v14, -v41, v45, 1.0
	v_div_scale_f32 v34, s1, v37, v11, v37
	v_mov_b32_e32 v16, v7
	ds_bpermute_b32 v7, v39, v49
	v_fmac_f32_e32 v45, v14, v45
	v_div_fmas_f32 v6, v6, v36, v24
	v_div_scale_f32 v36, s2, v12, v19, v12
	s_mov_b32 vcc_lo, s0
	v_mov_b32_e32 v24, v23
	v_div_fixup_f32 v29, v6, v19, v30
	v_div_scale_f32 v30, s3, v13, v9, v13
	v_dual_mul_f32 v5, v36, v45 :: v_dual_mul_f32 v31, v34, v40
	s_delay_alu instid0(VALU_DEP_3) | instskip(NEXT) | instid1(VALU_DEP_3)
	v_pk_add_f32 v[14:15], v[28:29], v[32:33]
	v_mul_f32_e32 v32, v30, v46
	v_div_fmas_f32 v18, v35, v48, v57
	s_mov_b32 vcc_lo, s2
	v_fma_f32 v14, -v25, v31, v34
	ds_bpermute_b32 v17, v38, v15
	v_dual_fma_f32 v29, -v41, v5, v36 :: v_dual_fma_f32 v33, -v44, v32, v30
	v_dual_mov_b32 v35, v11 :: v_dual_fmac_f32 v31, v14, v40
	v_div_fixup_f32 v14, v18, v19, v28
	s_delay_alu instid0(VALU_DEP_3) | instskip(NEXT) | instid1(VALU_DEP_4)
	v_fmac_f32_e32 v5, v29, v45
	v_dual_fmac_f32 v32, v33, v46 :: v_dual_mov_b32 v6, v19
	s_wait_dscnt 0x1
	s_delay_alu instid0(VALU_DEP_1)
	v_dual_add_f32 v7, v49, v7 :: v_dual_fma_f32 v33, -v44, v32, v30
	v_mov_b32_e32 v30, v23
	s_wait_dscnt 0x0
	v_pk_add_f32 v[28:29], v[14:15], v[16:17]
	v_fma_f32 v18, -v25, v31, v34
	v_fma_f32 v25, -v41, v5, v36
	v_sub_f32_e32 v14, v9, v21
	ds_bpermute_b32 v21, v38, v28
	v_div_fmas_f32 v16, v25, v45, v5
	v_mov_b32_e32 v5, v28
	s_mov_b32 vcc_lo, s3
	v_add_f32_e32 v39, v20, v14
	v_div_fmas_f32 v36, v33, v46, v32
	s_mov_b32 vcc_lo, s1
	v_pk_mul_f32 v[32:33], v[4:5], v[22:23]
	v_div_fmas_f32 v18, v18, v40, v31
	v_mov_b32_e32 v31, v20
	v_div_fixup_f32 v16, v16, v19, v12
	s_delay_alu instid0(VALU_DEP_4) | instskip(NEXT) | instid1(VALU_DEP_4)
	v_mul_f32_e32 v34, v4, v32
	v_div_fixup_f32 v14, v18, v11, v37
	v_mul_f32_e32 v25, 0x40400000, v4
	v_div_fixup_f32 v18, v47, v27, v51
	v_div_fixup_f32 v27, v36, v9, v13
	v_mul_f32_e32 v20, v19, v34
	v_dual_add_f32 v14, v10, v14 :: v_dual_mov_b32 v10, v19
	v_mul_f32_e32 v34, v4, v34
	s_delay_alu instid0(VALU_DEP_3) | instskip(SKIP_2) | instid1(VALU_DEP_3)
	v_dual_add_f32 v18, v7, v18 :: v_dual_mul_f32 v20, v20, v23
	s_wait_dscnt 0x0
	v_mul_f32_e32 v7, v19, v21
	v_pk_mul_f32 v[12:13], v[10:11], v[34:35]
	s_delay_alu instid0(VALU_DEP_3)
	v_dual_add_f32 v10, v27, v18 :: v_dual_mul_f32 v34, v50, v20
	v_mov_b32_e32 v18, v15
	v_pk_mul_f32 v[26:27], v[26:27], v[32:33]
	v_pk_fma_f32 v[6:7], v[4:5], v[22:23], v[6:7] neg_lo:[1,0,0] neg_hi:[1,0,0]
	v_mov_b32_e32 v19, v28
	v_div_scale_f32 v15, null, v13, v13, v34
	v_mov_b32_e32 v5, v32
	s_delay_alu instid0(VALU_DEP_4) | instskip(NEXT) | instid1(VALU_DEP_3)
	v_dual_add_f32 v35, v16, v10 :: v_dual_mov_b32 v27, v7
	v_rcp_f32_e32 v33, v15
	v_dual_mov_b32 v10, v23 :: v_dual_mov_b32 v20, v17
	v_pk_mul_f32 v[6:7], v[18:19], v[30:31]
	v_pk_mul_f32 v[2:3], v[4:5], v[2:3]
	v_mov_b32_e32 v4, v17
	v_pk_mul_f32 v[18:19], v[26:27], v[24:25]
	s_delay_alu instid0(TRANS32_DEP_1) | instskip(SKIP_3) | instid1(VALU_DEP_4)
	v_fma_f32 v16, -v15, v33, 1.0
	v_pk_mul_f32 v[22:23], v[12:13], v[10:11]
	v_div_scale_f32 v12, vcc_lo, v34, v13, v34
	v_pk_fma_f32 v[4:5], v[8:9], v[4:5], v[6:7] neg_lo:[0,0,1] neg_hi:[0,0,1]
	v_fmac_f32_e32 v33, v16, v33
	v_pk_fma_f32 v[16:17], v[8:9], v[20:21], v[6:7]
	v_div_scale_f32 v24, null, v11, v11, v18
	v_div_scale_f32 v10, null, v11, v11, v19
	s_delay_alu instid0(VALU_DEP_3) | instskip(NEXT) | instid1(VALU_DEP_3)
	v_mov_b32_e32 v5, v17
	v_rcp_f32_e32 v8, v24
	v_dual_mul_f32 v20, v12, v33 :: v_dual_mul_f32 v9, v39, v22
	s_delay_alu instid0(VALU_DEP_3) | instskip(NEXT) | instid1(VALU_DEP_2)
	v_rcp_f32_e32 v16, v10
	v_pk_mul_f32 v[2:3], v[2:3], v[4:5]
	v_div_scale_f32 v4, s0, v19, v11, v19
	s_delay_alu instid0(TRANS32_DEP_2) | instskip(SKIP_1) | instid1(VALU_DEP_4)
	v_fma_f32 v5, -v24, v8, 1.0
	v_fma_f32 v6, -v15, v20, v12
	v_div_scale_f32 v17, null, v11, v11, v2
	s_delay_alu instid0(TRANS32_DEP_1) | instskip(SKIP_1) | instid1(VALU_DEP_3)
	v_fma_f32 v7, -v10, v16, 1.0
	v_div_scale_f32 v27, null, v13, v13, v3
	v_rcp_f32_e32 v25, v17
	ds_bpermute_b32 v36, v38, v35
	v_rcp_f32_e32 v31, v27
	v_fma_f32 v30, -v17, v25, 1.0
	v_fmac_f32_e32 v8, v5, v8
	v_div_scale_f32 v5, s1, v18, v11, v18
	s_delay_alu instid0(VALU_DEP_3) | instskip(SKIP_1) | instid1(VALU_DEP_3)
	v_fmac_f32_e32 v25, v30, v25
	v_div_scale_f32 v30, s3, v2, v11, v2
	v_mul_f32_e32 v26, v5, v8
	v_fmac_f32_e32 v16, v7, v16
	v_fmac_f32_e32 v20, v6, v33
	v_div_scale_f32 v7, null, v23, v23, v9
	s_delay_alu instid0(VALU_DEP_2) | instskip(NEXT) | instid1(VALU_DEP_2)
	v_fma_f32 v6, -v15, v20, v12
	v_rcp_f32_e32 v15, v7
	v_mul_f32_e32 v12, v4, v16
	s_delay_alu instid0(TRANS32_DEP_1) | instskip(NEXT) | instid1(VALU_DEP_1)
	v_fma_f32 v22, -v7, v15, 1.0
	v_fmac_f32_e32 v15, v22, v15
	v_div_scale_f32 v22, s2, v9, v23, v9
	s_delay_alu instid0(VALU_DEP_1) | instskip(SKIP_4) | instid1(VALU_DEP_1)
	v_mul_f32_e32 v32, v22, v15
	v_div_fmas_f32 v6, v6, v33, v20
	v_fma_f32 v20, -v10, v12, v4
	v_fma_f32 v33, -v27, v31, 1.0
	s_mov_b32 vcc_lo, s0
	v_dual_fmac_f32 v12, v20, v16 :: v_dual_fmac_f32 v31, v33, v31
	v_fma_f32 v20, -v24, v26, v5
	v_div_scale_f32 v33, s4, v3, v13, v3
	s_delay_alu instid0(VALU_DEP_3) | instskip(SKIP_1) | instid1(VALU_DEP_4)
	v_fma_f32 v4, -v10, v12, v4
	v_fma_f32 v10, -v7, v32, v22
	v_dual_fmac_f32 v26, v20, v8 :: v_dual_mul_f32 v20, v30, v25
	s_delay_alu instid0(VALU_DEP_3) | instskip(NEXT) | instid1(VALU_DEP_2)
	v_div_fmas_f32 v12, v4, v16, v12
	v_dual_fmac_f32 v32, v10, v15 :: v_dual_fma_f32 v4, -v24, v26, v5
	v_mul_f32_e32 v10, v33, v31
	s_mov_b32 vcc_lo, s1
	s_delay_alu instid0(VALU_DEP_2) | instskip(NEXT) | instid1(VALU_DEP_3)
	v_div_fmas_f32 v8, v4, v8, v26
	v_fma_f32 v4, -v7, v32, v22
	s_delay_alu instid0(VALU_DEP_3) | instskip(SKIP_1) | instid1(VALU_DEP_2)
	v_dual_fma_f32 v5, -v17, v20, v30 :: v_dual_fma_f32 v7, -v27, v10, v33
	s_mov_b32 vcc_lo, s2
	v_div_fmas_f32 v4, v4, v15, v32
	s_delay_alu instid0(VALU_DEP_2) | instskip(SKIP_2) | instid1(VALU_DEP_3)
	v_dual_fmac_f32 v20, v5, v25 :: v_dual_fmac_f32 v10, v7, v31
	v_div_fixup_f32 v5, v6, v13, v34
	s_mov_b32 vcc_lo, s3
	v_div_fixup_f32 v9, v4, v23, v9
	s_delay_alu instid0(VALU_DEP_3) | instskip(SKIP_2) | instid1(VALU_DEP_2)
	v_dual_fma_f32 v6, -v17, v20, v30 :: v_dual_fma_f32 v4, -v27, v10, v33
	s_wait_dscnt 0x0
	v_add_f32_e32 v7, v35, v36
	v_div_fmas_f32 v15, v6, v25, v20
	s_mov_b32 vcc_lo, s4
	v_div_fmas_f32 v6, v4, v31, v10
	v_mov_b32_e32 v4, v21
	s_delay_alu instid0(VALU_DEP_3)
	v_div_fixup_f32 v2, v15, v11, v2
	v_add_f32_e32 v9, v7, v9
	v_cmp_lt_f32_e32 vcc_lo, v42, v52
	v_div_fixup_f32 v3, v6, v13, v3
	v_pk_add_f32 v[4:5], v[28:29], v[4:5]
	v_div_fixup_f32 v7, v12, v11, v19
	v_div_fixup_f32 v6, v8, v11, v18
	s_delay_alu instid0(VALU_DEP_4) | instskip(SKIP_1) | instid1(VALU_DEP_3)
	v_dual_add_f32 v3, v3, v9 :: v_dual_cndmask_b32 v9, v42, v52, vcc_lo
	v_cmp_lt_f32_e32 vcc_lo, v55, v43
	v_pk_add_f32 v[12:13], v[6:7], v[4:5]
	s_delay_alu instid0(VALU_DEP_3)
	v_add_f32_e32 v10, v2, v3
	v_cndmask_b32_e32 v8, v43, v55, vcc_lo
.LBB27_97:
	s_or_b32 exec_lo, exec_lo, s19
	s_branch .LBB27_125
.LBB27_98:
                                        ; implicit-def: $vgpr3
                                        ; implicit-def: $vgpr15
                                        ; implicit-def: $vgpr4_vgpr5
                                        ; implicit-def: $sgpr20_sgpr21
.LBB27_99:
	s_and_saveexec_b32 s0, s28
	s_cbranch_execnz .LBB27_130
.LBB27_100:
	s_endpgm
.LBB27_101:
                                        ; implicit-def: $vgpr10_vgpr11
                                        ; implicit-def: $vgpr8_vgpr9
                                        ; implicit-def: $vgpr12_vgpr13
                                        ; implicit-def: $vgpr14
	s_cbranch_execz .LBB27_125
; %bb.102:
	s_sub_co_i32 s0, s8, s6
	s_mov_b32 s1, exec_lo
                                        ; implicit-def: $vgpr14
	v_cmpx_gt_u32_e64 s0, v0
	s_cbranch_execz .LBB27_104
; %bb.103:
	s_lshl_b64 s[2:3], s[6:7], 2
	s_delay_alu instid0(SALU_CYCLE_1)
	s_add_nc_u64 s[2:3], s[22:23], s[2:3]
	s_wait_dscnt 0x3
	global_load_b32 v14, v0, s[2:3] scale_offset
.LBB27_104:
	s_wait_xcnt 0x0
	s_or_b32 exec_lo, exec_lo, s1
	v_cmp_ne_u32_e32 vcc_lo, 31, v1
	s_wait_dscnt 0x4
	v_and_b32_e32 v3, 0xe0, v0
	s_min_u32 s5, s0, 0x100
	s_wait_loadcnt_dscnt 0x3
	v_dual_mov_b32 v16, 0 :: v_dual_mov_b32 v15, v14
	s_wait_dscnt 0x0
	v_add_co_ci_u32_e64 v2, null, 0, v1, vcc_lo
	v_sub_nc_u32_e64 v24, s5, v3 clamp
	v_mov_b64_e32 v[20:21], 0
	v_mov_b64_e32 v[10:11], 0x3f80000000000000
	s_delay_alu instid0(VALU_DEP_4)
	v_dual_lshlrev_b32 v2, 2, v2 :: v_dual_add_nc_u32 v3, 1, v1
	v_mov_b64_e32 v[12:13], 0
	v_mov_b64_e32 v[4:5], v[14:15]
	v_mov_b32_e32 v8, v14
	ds_bpermute_b32 v2, v2, v14
	v_cmp_lt_u32_e32 vcc_lo, v3, v24
	v_dual_mov_b32 v3, 1.0 :: v_dual_mov_b32 v18, v14
	s_and_saveexec_b32 s0, vcc_lo
	s_cbranch_execz .LBB27_106
; %bb.105:
	s_wait_dscnt 0x0
	v_dual_sub_f32 v4, v2, v14 :: v_dual_mov_b32 v7, 0
	v_mov_b64_e32 v[10:11], 0x40c0000040800000
	v_mov_b64_e32 v[12:13], 0x3e8000003f000000
	v_cmp_lt_f32_e32 vcc_lo, v2, v14
	s_delay_alu instid0(VALU_DEP_4) | instskip(SKIP_2) | instid1(VALU_DEP_3)
	v_dual_mul_f32 v5, 0x40400000, v4 :: v_dual_mov_b32 v6, v4
	v_cndmask_b32_e32 v18, v14, v2, vcc_lo
	v_cmp_lt_f32_e32 vcc_lo, v14, v2
	v_pk_mul_f32 v[8:9], v[4:5], v[6:7]
	v_dual_mov_b32 v6, v7 :: v_dual_cndmask_b32 v15, v14, v2
	s_delay_alu instid0(VALU_DEP_2) | instskip(SKIP_1) | instid1(VALU_DEP_1)
	v_mul_f32_e32 v3, v4, v8
	v_dual_mov_b32 v5, v8 :: v_dual_fmac_f32 v14, 0.5, v4
	v_pk_mul_f32 v[10:11], v[4:5], v[10:11]
	s_delay_alu instid0(VALU_DEP_3) | instskip(NEXT) | instid1(VALU_DEP_2)
	v_mul_f32_e32 v5, v4, v3
	v_pk_mul_f32 v[10:11], v[10:11], 0 op_sel_hi:[1,0]
	s_delay_alu instid0(VALU_DEP_2) | instskip(NEXT) | instid1(VALU_DEP_2)
	v_fmamk_f32 v5, v5, 0x3e000000, v7
	v_pk_mul_f32 v[10:11], v[10:11], v[12:13]
	s_delay_alu instid0(VALU_DEP_1) | instskip(NEXT) | instid1(VALU_DEP_1)
	v_dual_add_f32 v5, v11, v5 :: v_dual_mul_f32 v3, 0, v3
	v_dual_add_f32 v20, v10, v5 :: v_dual_fmamk_f32 v7, v3, 0x3e800000, v7
	s_delay_alu instid0(VALU_DEP_1) | instskip(NEXT) | instid1(VALU_DEP_2)
	v_dual_mov_b32 v3, 2.0 :: v_dual_mov_b32 v2, v20
	v_pk_fma_f32 v[16:17], v[8:9], 0.5, v[6:7] op_sel_hi:[1,0,1]
	v_dual_mov_b32 v4, v15 :: v_dual_mov_b32 v8, v18
	s_delay_alu instid0(VALU_DEP_3) | instskip(NEXT) | instid1(VALU_DEP_3)
	v_mov_b64_e32 v[10:11], v[2:3]
	v_mov_b64_e32 v[12:13], v[16:17]
	v_mov_b32_e32 v21, v17
.LBB27_106:
	s_or_b32 exec_lo, exec_lo, s0
	v_cmp_gt_u32_e32 vcc_lo, 30, v1
	s_mov_b32 s6, exec_lo
	v_mov_b32_e32 v9, v4
	s_wait_dscnt 0x0
	v_cndmask_b32_e64 v2, 0, 2, vcc_lo
	s_delay_alu instid0(VALU_DEP_1)
	v_add_lshl_u32 v2, v2, v1, 2
	ds_bpermute_b32 v23, v2, v3
	ds_bpermute_b32 v5, v2, v18
	;; [unrolled: 1-line block ×7, first 2 shown]
	v_add_nc_u32_e32 v2, 2, v1
	s_delay_alu instid0(VALU_DEP_1)
	v_cmpx_lt_u32_e64 v2, v24
	s_cbranch_execz .LBB27_108
; %bb.107:
	s_wait_dscnt 0x1
	v_dual_mov_b32 v15, v11 :: v_dual_mov_b32 v9, v6
	v_dual_mov_b32 v20, v11 :: v_dual_mov_b32 v21, v12
	;; [unrolled: 1-line block ×3, first 2 shown]
	s_delay_alu instid0(VALU_DEP_3) | instskip(SKIP_3) | instid1(VALU_DEP_3)
	v_pk_add_f32 v[26:27], v[22:23], v[14:15] neg_lo:[0,1] neg_hi:[0,1]
	v_pk_add_f32 v[2:3], v[14:15], v[22:23]
	s_wait_dscnt 0x0
	v_dual_add_f32 v15, v10, v19 :: v_dual_mov_b32 v10, v23
	v_dual_mul_f32 v16, v11, v7 :: v_dual_mov_b32 v2, v26
	v_pk_add_f32 v[36:37], v[12:13], v[8:9]
	v_dual_sub_f32 v22, v11, v23 :: v_dual_mov_b32 v30, v11
	s_delay_alu instid0(VALU_DEP_3) | instskip(NEXT) | instid1(VALU_DEP_4)
	v_pk_fma_f32 v[20:21], v[20:21], v[28:29], v[16:17] op_sel_hi:[1,1,0] neg_lo:[1,0,0] neg_hi:[1,0,0]
	v_pk_mul_f32 v[18:19], v[2:3], v[2:3]
	v_pk_mul_f32 v[28:29], v[10:11], v[10:11]
	v_dual_mov_b32 v32, v11 :: v_dual_mov_b32 v34, v23
	v_dual_mov_b32 v36, v12 :: v_dual_mov_b32 v20, v23
	s_delay_alu instid0(VALU_DEP_4) | instskip(NEXT) | instid1(VALU_DEP_4)
	v_pk_mul_f32 v[38:39], v[2:3], v[18:19]
	v_dual_mov_b32 v2, v11 :: v_dual_mov_b32 v33, v29
	v_dual_mov_b32 v35, v28 :: v_dual_mul_f32 v16, v26, v23
	s_delay_alu instid0(VALU_DEP_3) | instskip(NEXT) | instid1(VALU_DEP_4)
	v_mul_f32_e32 v9, v11, v38
	v_pk_mul_f32 v[38:39], v[26:27], v[38:39]
	v_dual_mov_b32 v39, v3 :: v_dual_mov_b32 v31, v26
	s_delay_alu instid0(VALU_DEP_4) | instskip(NEXT) | instid1(VALU_DEP_4)
	v_div_scale_f32 v25, null, v3, v3, v16
	v_mul_f32_e32 v9, v9, v23
	s_delay_alu instid0(VALU_DEP_3) | instskip(SKIP_1) | instid1(VALU_DEP_4)
	v_pk_mul_f32 v[38:39], v[2:3], v[38:39]
	v_fma_f32 v2, -v11, v23, v29
	v_rcp_f32_e32 v40, v25
	v_mov_b32_e32 v19, 0x40400000
	v_mul_f32_e32 v9, v22, v9
	v_pk_mul_f32 v[12:13], v[12:13], v[34:35] op_sel:[1,0] op_sel_hi:[0,1]
	v_add_f32_e32 v27, v28, v2
	v_div_scale_f32 v28, vcc_lo, v16, v3, v16
	s_delay_alu instid0(VALU_DEP_4) | instskip(SKIP_1) | instid1(VALU_DEP_2)
	v_div_scale_f32 v41, null, v39, v39, v9
	v_div_scale_f32 v34, s0, v9, v39, v9
	v_rcp_f32_e32 v29, v41
	v_nop
	s_delay_alu instid0(TRANS32_DEP_1) | instskip(NEXT) | instid1(VALU_DEP_1)
	v_fma_f32 v2, -v41, v29, 1.0
	v_dual_fmac_f32 v29, v2, v29 :: v_dual_mov_b32 v2, v23
	v_pk_mul_f32 v[10:11], v[30:31], v[18:19]
	v_fma_f32 v19, -v25, v40, 1.0
	s_delay_alu instid0(VALU_DEP_3) | instskip(NEXT) | instid1(VALU_DEP_4)
	v_mul_f32_e32 v35, v34, v29
	v_pk_mul_f32 v[22:23], v[38:39], v[2:3]
	s_delay_alu instid0(VALU_DEP_4) | instskip(NEXT) | instid1(VALU_DEP_4)
	v_pk_mul_f32 v[10:11], v[10:11], v[20:21]
	v_fmac_f32_e32 v40, v19, v40
	v_pk_fma_f32 v[20:21], v[32:33], v[6:7], v[12:13]
	v_pk_fma_f32 v[12:13], v[32:33], v[6:7], v[12:13] neg_lo:[0,0,1] neg_hi:[0,0,1]
	s_delay_alu instid0(VALU_DEP_4) | instskip(NEXT) | instid1(VALU_DEP_4)
	v_div_scale_f32 v30, null, v3, v3, v11
	v_mul_f32_e32 v31, v28, v40
	v_div_scale_f32 v42, null, v3, v3, v10
	s_delay_alu instid0(VALU_DEP_3) | instskip(NEXT) | instid1(VALU_DEP_2)
	v_rcp_f32_e32 v20, v30
	v_fma_f32 v19, -v25, v31, v28
	s_delay_alu instid0(VALU_DEP_2) | instskip(NEXT) | instid1(VALU_DEP_1)
	v_rcp_f32_e32 v38, v42
	v_dual_fmac_f32 v31, v19, v40 :: v_dual_fma_f32 v19, -v41, v35, v34
	s_delay_alu instid0(TRANS32_DEP_2) | instskip(NEXT) | instid1(VALU_DEP_2)
	v_fma_f32 v2, -v30, v20, 1.0
	v_dual_mul_f32 v22, v27, v22 :: v_dual_fma_f32 v25, -v25, v31, v28
	s_delay_alu instid0(VALU_DEP_2) | instskip(SKIP_2) | instid1(VALU_DEP_4)
	v_dual_fmac_f32 v35, v19, v29 :: v_dual_fmac_f32 v20, v2, v20
	v_mov_b32_e32 v27, v18
	v_mov_b64_e32 v[18:19], 0x40c0000040800000
	v_div_fmas_f32 v2, v25, v40, v31
	s_delay_alu instid0(VALU_DEP_4) | instskip(SKIP_4) | instid1(VALU_DEP_4)
	v_fma_f32 v25, -v41, v35, v34
	v_div_scale_f32 v28, s1, v11, v3, v11
	v_mov_b32_e32 v13, v21
	v_div_scale_f32 v21, null, v23, v23, v22
	v_pk_mul_f32 v[18:19], v[26:27], v[18:19]
	v_mul_f32_e32 v6, v28, v20
	s_mov_b32 vcc_lo, s0
	v_fma_f32 v31, -v42, v38, 1.0
	v_div_fmas_f32 v25, v25, v29, v35
	v_pk_mul_f32 v[12:13], v[18:19], v[12:13]
	v_rcp_f32_e32 v19, v21
	v_div_scale_f32 v18, s2, v10, v3, v10
	s_mov_b32 vcc_lo, s1
	v_div_scale_f32 v26, null, v39, v39, v13
	v_div_scale_f32 v33, null, v3, v3, v12
	s_delay_alu instid0(TRANS32_DEP_1) | instskip(SKIP_1) | instid1(VALU_DEP_4)
	v_fma_f32 v29, -v21, v19, 1.0
	v_fmac_f32_e32 v38, v31, v38
	v_rcp_f32_e32 v31, v26
	s_delay_alu instid0(VALU_DEP_3) | instskip(NEXT) | instid1(VALU_DEP_2)
	v_rcp_f32_e32 v35, v33
	v_fmac_f32_e32 v19, v29, v19
	v_div_scale_f32 v29, s0, v22, v23, v22
	v_fma_f32 v27, -v30, v6, v28
	s_delay_alu instid0(TRANS32_DEP_2) | instskip(NEXT) | instid1(TRANS32_DEP_1)
	v_fma_f32 v34, -v26, v31, 1.0
	v_fma_f32 v41, -v33, v35, 1.0
	s_delay_alu instid0(VALU_DEP_4) | instskip(NEXT) | instid1(VALU_DEP_2)
	v_dual_mul_f32 v40, v29, v19 :: v_dual_mul_f32 v32, v18, v38
	v_dual_fmac_f32 v6, v27, v20 :: v_dual_fmac_f32 v35, v41, v35
	v_div_scale_f32 v41, s4, v12, v3, v12
	s_delay_alu instid0(VALU_DEP_3) | instskip(SKIP_1) | instid1(VALU_DEP_4)
	v_fma_f32 v27, -v42, v32, v18
	v_fmac_f32_e32 v31, v34, v31
	v_fma_f32 v28, -v30, v6, v28
	v_div_scale_f32 v34, s3, v13, v39, v13
	s_delay_alu instid0(VALU_DEP_4) | instskip(NEXT) | instid1(VALU_DEP_3)
	v_dual_fmac_f32 v32, v27, v38 :: v_dual_fma_f32 v27, -v21, v40, v29
	v_div_fmas_f32 v20, v28, v20, v6
	s_mov_b32 vcc_lo, s2
	s_delay_alu instid0(VALU_DEP_2) | instskip(SKIP_3) | instid1(VALU_DEP_4)
	v_dual_fma_f32 v6, -v42, v32, v18 :: v_dual_fmac_f32 v40, v27, v19
	v_mul_f32_e32 v30, v34, v31
	v_mul_f32_e32 v27, v41, v35
	v_div_fixup_f32 v11, v20, v3, v11
	v_div_fmas_f32 v28, v6, v38, v32
	v_fma_f32 v6, -v21, v40, v29
	s_mov_b32 vcc_lo, s0
	v_dual_fma_f32 v18, -v26, v30, v34 :: v_dual_fma_f32 v21, -v33, v27, v41
	s_delay_alu instid0(VALU_DEP_3) | instskip(NEXT) | instid1(VALU_DEP_3)
	v_div_fixup_f32 v10, v28, v3, v10
	v_div_fmas_f32 v6, v6, v19, v40
	s_mov_b32 vcc_lo, s3
	v_div_fixup_f32 v19, v25, v39, v9
	s_delay_alu instid0(VALU_DEP_2) | instskip(SKIP_1) | instid1(VALU_DEP_2)
	v_div_fixup_f32 v6, v6, v23, v22
	v_dual_fmac_f32 v30, v18, v31 :: v_dual_mov_b32 v18, v7
	v_dual_add_f32 v15, v15, v6 :: v_dual_fmac_f32 v27, v21, v35
	s_delay_alu instid0(VALU_DEP_1) | instskip(NEXT) | instid1(VALU_DEP_1)
	v_dual_fma_f32 v7, -v26, v30, v34 :: v_dual_fma_f32 v9, -v33, v27, v41
	v_div_fmas_f32 v7, v7, v31, v30
	s_mov_b32 vcc_lo, s4
	s_delay_alu instid0(VALU_DEP_2) | instskip(NEXT) | instid1(VALU_DEP_2)
	v_div_fmas_f32 v9, v9, v35, v27
	v_div_fixup_f32 v13, v7, v39, v13
	v_cmp_lt_f32_e32 vcc_lo, v4, v17
	v_pk_add_f32 v[6:7], v[36:37], v[18:19]
	s_delay_alu instid0(VALU_DEP_4)
	v_div_fixup_f32 v9, v9, v3, v12
	v_cndmask_b32_e32 v19, v4, v17, vcc_lo
	v_cmp_lt_f32_e32 vcc_lo, v5, v8
	v_add_f32_e32 v12, v13, v15
	v_div_fixup_f32 v4, v2, v3, v16
	v_pk_add_f32 v[16:17], v[10:11], v[6:7]
	v_dual_mov_b32 v15, v19 :: v_dual_cndmask_b32 v18, v8, v5
	s_delay_alu instid0(VALU_DEP_4) | instskip(NEXT) | instid1(VALU_DEP_3)
	v_add_f32_e32 v2, v9, v12
	v_dual_add_f32 v14, v14, v4 :: v_dual_mov_b32 v21, v17
	s_delay_alu instid0(VALU_DEP_4) | instskip(NEXT) | instid1(VALU_DEP_4)
	v_mov_b64_e32 v[12:13], v[16:17]
	v_mov_b64_e32 v[8:9], v[18:19]
	s_delay_alu instid0(VALU_DEP_4)
	v_mov_b64_e32 v[10:11], v[2:3]
	v_mov_b32_e32 v20, v2
.LBB27_108:
	s_or_b32 exec_lo, exec_lo, s6
	v_cmp_gt_u32_e32 vcc_lo, 28, v1
	s_mov_b32 s6, exec_lo
	v_cndmask_b32_e64 v2, 0, 4, vcc_lo
	s_delay_alu instid0(VALU_DEP_1)
	v_add_lshl_u32 v2, v2, v1, 2
	s_wait_dscnt 0x2
	ds_bpermute_b32 v7, v2, v3
	ds_bpermute_b32 v22, v2, v18
	;; [unrolled: 1-line block ×3, first 2 shown]
	s_wait_dscnt 0x4
	ds_bpermute_b32 v6, v2, v14
	ds_bpermute_b32 v5, v2, v16
	;; [unrolled: 1-line block ×3, first 2 shown]
	s_wait_dscnt 0x6
	ds_bpermute_b32 v19, v2, v20
	v_add_nc_u32_e32 v2, 4, v1
	s_delay_alu instid0(VALU_DEP_1)
	v_cmpx_lt_u32_e64 v2, v24
	s_cbranch_execz .LBB27_110
; %bb.109:
	s_wait_dscnt 0x1
	v_dual_mov_b32 v15, v11 :: v_dual_mov_b32 v21, v4
	v_dual_mov_b32 v26, v11 :: v_dual_mov_b32 v27, v12
	;; [unrolled: 1-line block ×3, first 2 shown]
	s_delay_alu instid0(VALU_DEP_3) | instskip(SKIP_3) | instid1(VALU_DEP_3)
	v_pk_add_f32 v[28:29], v[6:7], v[14:15] neg_lo:[0,1] neg_hi:[0,1]
	v_pk_add_f32 v[2:3], v[14:15], v[6:7]
	s_wait_dscnt 0x0
	v_dual_add_f32 v15, v10, v19 :: v_dual_mov_b32 v10, v7
	v_dual_mul_f32 v6, v11, v5 :: v_dual_mov_b32 v2, v28
	v_dual_sub_f32 v16, v11, v7 :: v_dual_mov_b32 v20, v11
	v_dual_mov_b32 v33, 0x40400000 :: v_dual_mov_b32 v32, v11
	s_delay_alu instid0(VALU_DEP_3) | instskip(NEXT) | instid1(VALU_DEP_4)
	v_pk_mul_f32 v[18:19], v[2:3], v[2:3]
	v_pk_fma_f32 v[26:27], v[26:27], v[30:31], v[6:7] op_sel_hi:[1,1,0] neg_lo:[1,0,0] neg_hi:[1,0,0]
	v_pk_mul_f32 v[30:31], v[10:11], v[10:11]
	v_pk_add_f32 v[38:39], v[12:13], v[20:21]
	v_dual_mov_b32 v34, v7 :: v_dual_mov_b32 v38, v12
	v_pk_mul_f32 v[36:37], v[2:3], v[18:19]
	v_dual_mov_b32 v2, v11 :: v_dual_mov_b32 v19, v28
	v_dual_mov_b32 v21, v31 :: v_dual_mul_f32 v23, v28, v7
	s_delay_alu instid0(VALU_DEP_3) | instskip(NEXT) | instid1(VALU_DEP_4)
	v_mul_f32_e32 v6, v11, v36
	v_pk_mul_f32 v[36:37], v[28:29], v[36:37]
	v_dual_mov_b32 v37, v3 :: v_dual_mov_b32 v26, v7
	s_delay_alu instid0(VALU_DEP_4) | instskip(NEXT) | instid1(VALU_DEP_4)
	v_div_scale_f32 v25, null, v3, v3, v23
	v_mul_f32_e32 v6, v6, v7
	s_delay_alu instid0(VALU_DEP_3) | instskip(SKIP_1) | instid1(VALU_DEP_4)
	v_pk_mul_f32 v[36:37], v[2:3], v[36:37]
	v_fma_f32 v2, -v11, v7, v31
	v_rcp_f32_e32 v40, v25
	v_pk_mul_f32 v[10:11], v[32:33], v[18:19]
	v_dual_mul_f32 v16, v16, v6 :: v_dual_mov_b32 v35, v30
	s_delay_alu instid0(VALU_DEP_3) | instskip(SKIP_1) | instid1(VALU_DEP_3)
	v_add_f32_e32 v19, v30, v2
	v_div_scale_f32 v29, vcc_lo, v23, v3, v23
	v_div_scale_f32 v41, null, v37, v37, v16
	s_delay_alu instid0(TRANS32_DEP_1) | instskip(SKIP_2) | instid1(VALU_DEP_4)
	v_fma_f32 v6, -v25, v40, 1.0
	v_pk_mul_f32 v[10:11], v[10:11], v[26:27]
	v_pk_mul_f32 v[12:13], v[12:13], v[34:35] op_sel:[1,0] op_sel_hi:[0,1]
	v_rcp_f32_e32 v31, v41
	v_div_scale_f32 v33, s0, v16, v37, v16
	v_fmac_f32_e32 v40, v6, v40
	v_div_scale_f32 v30, null, v3, v3, v11
	v_pk_fma_f32 v[26:27], v[20:21], v[4:5], v[12:13]
	s_delay_alu instid0(TRANS32_DEP_1) | instskip(SKIP_1) | instid1(VALU_DEP_4)
	v_fma_f32 v2, -v41, v31, 1.0
	v_div_scale_f32 v42, null, v3, v3, v10
	v_rcp_f32_e32 v26, v30
	v_pk_fma_f32 v[12:13], v[20:21], v[4:5], v[12:13] neg_lo:[0,0,1] neg_hi:[0,0,1]
	s_delay_alu instid0(VALU_DEP_3) | instskip(NEXT) | instid1(VALU_DEP_1)
	v_dual_fmac_f32 v31, v2, v31 :: v_dual_mov_b32 v2, v7
	v_pk_mul_f32 v[6:7], v[36:37], v[2:3]
	v_mul_f32_e32 v32, v29, v40
	s_delay_alu instid0(TRANS32_DEP_1) | instskip(SKIP_1) | instid1(VALU_DEP_2)
	v_fma_f32 v2, -v30, v26, 1.0
	v_rcp_f32_e32 v36, v42
	v_dual_mul_f32 v6, v19, v6 :: v_dual_fma_f32 v34, -v25, v32, v29
	s_delay_alu instid0(VALU_DEP_2) | instskip(NEXT) | instid1(VALU_DEP_2)
	v_dual_mul_f32 v35, v33, v31 :: v_dual_fmac_f32 v26, v2, v26
	v_div_scale_f32 v20, null, v7, v7, v6
	s_delay_alu instid0(VALU_DEP_2) | instskip(NEXT) | instid1(VALU_DEP_1)
	v_dual_fmac_f32 v32, v34, v40 :: v_dual_fma_f32 v34, -v41, v35, v33
	v_dual_fma_f32 v25, -v25, v32, v29 :: v_dual_fmac_f32 v35, v34, v31
	v_mov_b32_e32 v29, v18
	v_mov_b64_e32 v[18:19], 0x40c0000040800000
	s_delay_alu instid0(VALU_DEP_3) | instskip(NEXT) | instid1(VALU_DEP_4)
	v_div_fmas_f32 v2, v25, v40, v32
	v_fma_f32 v25, -v41, v35, v33
	v_div_scale_f32 v32, s1, v11, v3, v11
	v_mov_b32_e32 v13, v27
	v_pk_mul_f32 v[18:19], v[28:29], v[18:19]
	v_fma_f32 v33, -v42, v36, 1.0
	s_delay_alu instid0(VALU_DEP_4) | instskip(SKIP_1) | instid1(VALU_DEP_3)
	v_mul_f32_e32 v4, v32, v26
	s_mov_b32 vcc_lo, s0
	v_pk_mul_f32 v[12:13], v[18:19], v[12:13]
	v_rcp_f32_e32 v19, v20
	v_div_scale_f32 v18, s2, v10, v3, v10
	v_div_fmas_f32 v25, v25, v31, v35
	s_delay_alu instid0(VALU_DEP_3) | instskip(SKIP_1) | instid1(TRANS32_DEP_1)
	v_div_scale_f32 v21, null, v37, v37, v13
	s_mov_b32 vcc_lo, s1
	v_fma_f32 v28, -v20, v19, 1.0
	v_fmac_f32_e32 v36, v33, v36
	v_rcp_f32_e32 v29, v21
	v_div_scale_f32 v33, null, v3, v3, v12
	s_delay_alu instid0(VALU_DEP_3) | instskip(SKIP_1) | instid1(VALU_DEP_3)
	v_fmac_f32_e32 v19, v28, v19
	v_div_scale_f32 v28, s0, v6, v7, v6
	v_rcp_f32_e32 v35, v33
	v_fma_f32 v27, -v30, v4, v32
	s_delay_alu instid0(TRANS32_DEP_2) | instskip(NEXT) | instid1(VALU_DEP_3)
	v_fma_f32 v34, -v21, v29, 1.0
	v_dual_mul_f32 v40, v28, v19 :: v_dual_mul_f32 v31, v18, v36
	s_delay_alu instid0(VALU_DEP_3) | instskip(NEXT) | instid1(TRANS32_DEP_1)
	v_fmac_f32_e32 v4, v27, v26
	v_fma_f32 v41, -v33, v35, 1.0
	s_delay_alu instid0(VALU_DEP_3) | instskip(SKIP_2) | instid1(VALU_DEP_4)
	v_fma_f32 v27, -v42, v31, v18
	v_fmac_f32_e32 v29, v34, v29
	v_div_scale_f32 v34, s3, v13, v37, v13
	v_dual_fma_f32 v30, -v30, v4, v32 :: v_dual_fmac_f32 v35, v41, v35
	s_delay_alu instid0(VALU_DEP_4) | instskip(NEXT) | instid1(VALU_DEP_3)
	v_fmac_f32_e32 v31, v27, v36
	v_dual_fma_f32 v27, -v20, v40, v28 :: v_dual_mul_f32 v32, v34, v29
	v_div_scale_f32 v41, s4, v12, v3, v12
	s_delay_alu instid0(VALU_DEP_4) | instskip(NEXT) | instid1(VALU_DEP_4)
	v_div_fmas_f32 v26, v30, v26, v4
	v_fma_f32 v4, -v42, v31, v18
	s_delay_alu instid0(VALU_DEP_4) | instskip(NEXT) | instid1(VALU_DEP_4)
	v_dual_fmac_f32 v40, v27, v19 :: v_dual_fma_f32 v18, -v21, v32, v34
	v_mul_f32_e32 v27, v41, v35
	s_mov_b32 vcc_lo, s2
	s_delay_alu instid0(VALU_DEP_3) | instskip(NEXT) | instid1(VALU_DEP_2)
	v_div_fmas_f32 v30, v4, v36, v31
	v_dual_fma_f32 v4, -v20, v40, v28 :: v_dual_fma_f32 v20, -v33, v27, v41
	v_fmac_f32_e32 v32, v18, v29
	s_mov_b32 vcc_lo, s0
	v_mov_b32_e32 v18, v5
	s_delay_alu instid0(VALU_DEP_3) | instskip(NEXT) | instid1(VALU_DEP_3)
	v_div_fmas_f32 v4, v4, v19, v40
	v_dual_fmac_f32 v27, v20, v35 :: v_dual_fma_f32 v5, -v21, v32, v34
	s_mov_b32 vcc_lo, s3
	v_div_fixup_f32 v19, v25, v37, v16
	s_delay_alu instid0(VALU_DEP_3) | instskip(NEXT) | instid1(VALU_DEP_3)
	v_div_fixup_f32 v4, v4, v7, v6
	v_fma_f32 v6, -v33, v27, v41
	v_div_fmas_f32 v5, v5, v29, v32
	s_mov_b32 vcc_lo, s4
	v_div_fixup_f32 v7, v26, v3, v11
	v_add_f32_e32 v15, v15, v4
	v_div_fmas_f32 v6, v6, v35, v27
	v_div_fixup_f32 v13, v5, v37, v13
	v_cmp_lt_f32_e32 vcc_lo, v9, v17
	v_pk_add_f32 v[4:5], v[38:39], v[18:19]
	s_delay_alu instid0(VALU_DEP_4)
	v_div_fixup_f32 v11, v6, v3, v12
	v_div_fixup_f32 v6, v30, v3, v10
	v_cndmask_b32_e32 v19, v9, v17, vcc_lo
	v_div_fixup_f32 v9, v2, v3, v23
	v_add_f32_e32 v12, v13, v15
	v_cmp_lt_f32_e32 vcc_lo, v22, v8
	v_pk_add_f32 v[16:17], v[6:7], v[4:5]
	s_delay_alu instid0(VALU_DEP_3) | instskip(SKIP_1) | instid1(VALU_DEP_3)
	v_dual_add_f32 v14, v14, v9 :: v_dual_add_f32 v2, v11, v12
	v_cndmask_b32_e32 v18, v8, v22, vcc_lo
	v_mov_b64_e32 v[12:13], v[16:17]
	v_dual_mov_b32 v21, v17 :: v_dual_mov_b32 v15, v19
	s_delay_alu instid0(VALU_DEP_4) | instskip(NEXT) | instid1(VALU_DEP_4)
	v_mov_b64_e32 v[10:11], v[2:3]
	v_mov_b64_e32 v[8:9], v[18:19]
	v_mov_b32_e32 v20, v2
.LBB27_110:
	s_or_b32 exec_lo, exec_lo, s6
	v_cmp_gt_u32_e32 vcc_lo, 24, v1
	s_mov_b32 s6, exec_lo
	v_cndmask_b32_e64 v2, 0, 8, vcc_lo
	s_delay_alu instid0(VALU_DEP_1)
	v_add_lshl_u32 v2, v2, v1, 2
	s_wait_dscnt 0x6
	ds_bpermute_b32 v7, v2, v3
	s_wait_dscnt 0x6
	ds_bpermute_b32 v22, v2, v18
	;; [unrolled: 2-line block ×7, first 2 shown]
	v_add_nc_u32_e32 v2, 8, v1
	s_delay_alu instid0(VALU_DEP_1)
	v_cmpx_lt_u32_e64 v2, v24
	s_cbranch_execz .LBB27_112
; %bb.111:
	s_wait_dscnt 0x1
	v_dual_mov_b32 v15, v11 :: v_dual_mov_b32 v21, v4
	v_dual_mov_b32 v26, v11 :: v_dual_mov_b32 v27, v12
	;; [unrolled: 1-line block ×3, first 2 shown]
	s_delay_alu instid0(VALU_DEP_3) | instskip(SKIP_3) | instid1(VALU_DEP_3)
	v_pk_add_f32 v[28:29], v[6:7], v[14:15] neg_lo:[0,1] neg_hi:[0,1]
	v_pk_add_f32 v[2:3], v[14:15], v[6:7]
	s_wait_dscnt 0x0
	v_dual_add_f32 v15, v10, v19 :: v_dual_mov_b32 v10, v7
	v_dual_mul_f32 v6, v11, v5 :: v_dual_mov_b32 v2, v28
	v_dual_sub_f32 v16, v11, v7 :: v_dual_mov_b32 v20, v11
	v_dual_mov_b32 v33, 0x40400000 :: v_dual_mov_b32 v32, v11
	s_delay_alu instid0(VALU_DEP_3) | instskip(NEXT) | instid1(VALU_DEP_4)
	v_pk_mul_f32 v[18:19], v[2:3], v[2:3]
	v_pk_fma_f32 v[26:27], v[26:27], v[30:31], v[6:7] op_sel_hi:[1,1,0] neg_lo:[1,0,0] neg_hi:[1,0,0]
	v_pk_mul_f32 v[30:31], v[10:11], v[10:11]
	v_pk_add_f32 v[38:39], v[12:13], v[20:21]
	v_dual_mov_b32 v34, v7 :: v_dual_mov_b32 v38, v12
	v_pk_mul_f32 v[36:37], v[2:3], v[18:19]
	v_dual_mov_b32 v2, v11 :: v_dual_mov_b32 v19, v28
	v_dual_mov_b32 v21, v31 :: v_dual_mul_f32 v23, v28, v7
	s_delay_alu instid0(VALU_DEP_3) | instskip(NEXT) | instid1(VALU_DEP_4)
	v_mul_f32_e32 v6, v11, v36
	v_pk_mul_f32 v[36:37], v[28:29], v[36:37]
	v_dual_mov_b32 v37, v3 :: v_dual_mov_b32 v26, v7
	s_delay_alu instid0(VALU_DEP_4) | instskip(NEXT) | instid1(VALU_DEP_4)
	v_div_scale_f32 v25, null, v3, v3, v23
	v_mul_f32_e32 v6, v6, v7
	s_delay_alu instid0(VALU_DEP_3) | instskip(SKIP_1) | instid1(VALU_DEP_4)
	v_pk_mul_f32 v[36:37], v[2:3], v[36:37]
	v_fma_f32 v2, -v11, v7, v31
	v_rcp_f32_e32 v40, v25
	v_pk_mul_f32 v[10:11], v[32:33], v[18:19]
	v_dual_mul_f32 v16, v16, v6 :: v_dual_mov_b32 v35, v30
	s_delay_alu instid0(VALU_DEP_3) | instskip(SKIP_1) | instid1(VALU_DEP_3)
	v_add_f32_e32 v19, v30, v2
	v_div_scale_f32 v29, vcc_lo, v23, v3, v23
	v_div_scale_f32 v41, null, v37, v37, v16
	s_delay_alu instid0(TRANS32_DEP_1) | instskip(SKIP_2) | instid1(VALU_DEP_4)
	v_fma_f32 v6, -v25, v40, 1.0
	v_pk_mul_f32 v[10:11], v[10:11], v[26:27]
	v_pk_mul_f32 v[12:13], v[12:13], v[34:35] op_sel:[1,0] op_sel_hi:[0,1]
	v_rcp_f32_e32 v31, v41
	v_div_scale_f32 v33, s0, v16, v37, v16
	v_fmac_f32_e32 v40, v6, v40
	v_div_scale_f32 v30, null, v3, v3, v11
	v_pk_fma_f32 v[26:27], v[20:21], v[4:5], v[12:13]
	s_delay_alu instid0(TRANS32_DEP_1) | instskip(SKIP_1) | instid1(VALU_DEP_4)
	v_fma_f32 v2, -v41, v31, 1.0
	v_div_scale_f32 v42, null, v3, v3, v10
	v_rcp_f32_e32 v26, v30
	v_pk_fma_f32 v[12:13], v[20:21], v[4:5], v[12:13] neg_lo:[0,0,1] neg_hi:[0,0,1]
	s_delay_alu instid0(VALU_DEP_3) | instskip(NEXT) | instid1(VALU_DEP_1)
	v_dual_fmac_f32 v31, v2, v31 :: v_dual_mov_b32 v2, v7
	v_pk_mul_f32 v[6:7], v[36:37], v[2:3]
	v_mul_f32_e32 v32, v29, v40
	s_delay_alu instid0(TRANS32_DEP_1) | instskip(SKIP_1) | instid1(VALU_DEP_2)
	v_fma_f32 v2, -v30, v26, 1.0
	v_rcp_f32_e32 v36, v42
	v_dual_mul_f32 v6, v19, v6 :: v_dual_fma_f32 v34, -v25, v32, v29
	s_delay_alu instid0(VALU_DEP_2) | instskip(NEXT) | instid1(VALU_DEP_2)
	v_dual_mul_f32 v35, v33, v31 :: v_dual_fmac_f32 v26, v2, v26
	v_div_scale_f32 v20, null, v7, v7, v6
	s_delay_alu instid0(VALU_DEP_2) | instskip(NEXT) | instid1(VALU_DEP_1)
	v_dual_fmac_f32 v32, v34, v40 :: v_dual_fma_f32 v34, -v41, v35, v33
	v_dual_fma_f32 v25, -v25, v32, v29 :: v_dual_fmac_f32 v35, v34, v31
	v_mov_b32_e32 v29, v18
	v_mov_b64_e32 v[18:19], 0x40c0000040800000
	s_delay_alu instid0(VALU_DEP_3) | instskip(NEXT) | instid1(VALU_DEP_4)
	v_div_fmas_f32 v2, v25, v40, v32
	v_fma_f32 v25, -v41, v35, v33
	v_div_scale_f32 v32, s1, v11, v3, v11
	v_mov_b32_e32 v13, v27
	v_pk_mul_f32 v[18:19], v[28:29], v[18:19]
	v_fma_f32 v33, -v42, v36, 1.0
	s_delay_alu instid0(VALU_DEP_4) | instskip(SKIP_1) | instid1(VALU_DEP_3)
	v_mul_f32_e32 v4, v32, v26
	s_mov_b32 vcc_lo, s0
	v_pk_mul_f32 v[12:13], v[18:19], v[12:13]
	v_rcp_f32_e32 v19, v20
	v_div_scale_f32 v18, s2, v10, v3, v10
	v_div_fmas_f32 v25, v25, v31, v35
	s_delay_alu instid0(VALU_DEP_3) | instskip(SKIP_1) | instid1(TRANS32_DEP_1)
	v_div_scale_f32 v21, null, v37, v37, v13
	s_mov_b32 vcc_lo, s1
	v_fma_f32 v28, -v20, v19, 1.0
	v_fmac_f32_e32 v36, v33, v36
	v_rcp_f32_e32 v29, v21
	v_div_scale_f32 v33, null, v3, v3, v12
	s_delay_alu instid0(VALU_DEP_3) | instskip(SKIP_1) | instid1(VALU_DEP_3)
	v_fmac_f32_e32 v19, v28, v19
	v_div_scale_f32 v28, s0, v6, v7, v6
	v_rcp_f32_e32 v35, v33
	v_fma_f32 v27, -v30, v4, v32
	s_delay_alu instid0(TRANS32_DEP_2) | instskip(NEXT) | instid1(VALU_DEP_3)
	v_fma_f32 v34, -v21, v29, 1.0
	v_dual_mul_f32 v40, v28, v19 :: v_dual_mul_f32 v31, v18, v36
	s_delay_alu instid0(VALU_DEP_3) | instskip(NEXT) | instid1(TRANS32_DEP_1)
	v_fmac_f32_e32 v4, v27, v26
	v_fma_f32 v41, -v33, v35, 1.0
	s_delay_alu instid0(VALU_DEP_3) | instskip(SKIP_2) | instid1(VALU_DEP_4)
	v_fma_f32 v27, -v42, v31, v18
	v_fmac_f32_e32 v29, v34, v29
	v_div_scale_f32 v34, s3, v13, v37, v13
	v_dual_fma_f32 v30, -v30, v4, v32 :: v_dual_fmac_f32 v35, v41, v35
	s_delay_alu instid0(VALU_DEP_4) | instskip(NEXT) | instid1(VALU_DEP_3)
	v_fmac_f32_e32 v31, v27, v36
	v_dual_fma_f32 v27, -v20, v40, v28 :: v_dual_mul_f32 v32, v34, v29
	v_div_scale_f32 v41, s4, v12, v3, v12
	s_delay_alu instid0(VALU_DEP_4) | instskip(NEXT) | instid1(VALU_DEP_4)
	v_div_fmas_f32 v26, v30, v26, v4
	v_fma_f32 v4, -v42, v31, v18
	s_delay_alu instid0(VALU_DEP_4) | instskip(NEXT) | instid1(VALU_DEP_4)
	v_dual_fmac_f32 v40, v27, v19 :: v_dual_fma_f32 v18, -v21, v32, v34
	v_mul_f32_e32 v27, v41, v35
	s_mov_b32 vcc_lo, s2
	s_delay_alu instid0(VALU_DEP_3) | instskip(NEXT) | instid1(VALU_DEP_2)
	v_div_fmas_f32 v30, v4, v36, v31
	v_dual_fma_f32 v4, -v20, v40, v28 :: v_dual_fma_f32 v20, -v33, v27, v41
	v_fmac_f32_e32 v32, v18, v29
	s_mov_b32 vcc_lo, s0
	v_mov_b32_e32 v18, v5
	s_delay_alu instid0(VALU_DEP_3) | instskip(NEXT) | instid1(VALU_DEP_3)
	v_div_fmas_f32 v4, v4, v19, v40
	v_dual_fmac_f32 v27, v20, v35 :: v_dual_fma_f32 v5, -v21, v32, v34
	s_mov_b32 vcc_lo, s3
	v_div_fixup_f32 v19, v25, v37, v16
	s_delay_alu instid0(VALU_DEP_3) | instskip(NEXT) | instid1(VALU_DEP_3)
	v_div_fixup_f32 v4, v4, v7, v6
	v_fma_f32 v6, -v33, v27, v41
	v_div_fmas_f32 v5, v5, v29, v32
	s_mov_b32 vcc_lo, s4
	v_div_fixup_f32 v7, v26, v3, v11
	v_add_f32_e32 v15, v15, v4
	v_div_fmas_f32 v6, v6, v35, v27
	v_div_fixup_f32 v13, v5, v37, v13
	v_cmp_lt_f32_e32 vcc_lo, v9, v17
	v_pk_add_f32 v[4:5], v[38:39], v[18:19]
	s_delay_alu instid0(VALU_DEP_4)
	v_div_fixup_f32 v11, v6, v3, v12
	v_div_fixup_f32 v6, v30, v3, v10
	v_cndmask_b32_e32 v19, v9, v17, vcc_lo
	v_div_fixup_f32 v9, v2, v3, v23
	v_add_f32_e32 v12, v13, v15
	v_cmp_lt_f32_e32 vcc_lo, v22, v8
	v_pk_add_f32 v[16:17], v[6:7], v[4:5]
	s_delay_alu instid0(VALU_DEP_3) | instskip(SKIP_1) | instid1(VALU_DEP_3)
	v_dual_add_f32 v14, v14, v9 :: v_dual_add_f32 v2, v11, v12
	v_cndmask_b32_e32 v18, v8, v22, vcc_lo
	v_mov_b64_e32 v[12:13], v[16:17]
	v_dual_mov_b32 v21, v17 :: v_dual_mov_b32 v15, v19
	s_delay_alu instid0(VALU_DEP_4) | instskip(NEXT) | instid1(VALU_DEP_4)
	v_mov_b64_e32 v[10:11], v[2:3]
	v_mov_b64_e32 v[8:9], v[18:19]
	v_mov_b32_e32 v20, v2
.LBB27_112:
	s_or_b32 exec_lo, exec_lo, s6
	s_wait_dscnt 0x5
	v_lshlrev_b32_e32 v22, 2, v1
	s_mov_b32 s6, exec_lo
	s_wait_dscnt 0x4
	s_delay_alu instid0(VALU_DEP_1)
	v_or_b32_e32 v17, 64, v22
	s_wait_dscnt 0x2
	ds_bpermute_b32 v5, v17, v3
	ds_bpermute_b32 v6, v17, v18
	;; [unrolled: 1-line block ×3, first 2 shown]
	s_wait_dscnt 0x4
	ds_bpermute_b32 v4, v17, v14
	ds_bpermute_b32 v3, v17, v16
	;; [unrolled: 1-line block ×4, first 2 shown]
	v_add_nc_u32_e32 v15, 16, v1
	s_delay_alu instid0(VALU_DEP_1)
	v_cmpx_lt_u32_e64 v15, v24
	s_cbranch_execz .LBB27_114
; %bb.113:
	s_wait_dscnt 0x1
	v_dual_mov_b32 v15, v11 :: v_dual_mov_b32 v17, v2
	v_dual_mov_b32 v18, v11 :: v_dual_mov_b32 v19, v12
	;; [unrolled: 1-line block ×3, first 2 shown]
	s_delay_alu instid0(VALU_DEP_3) | instskip(SKIP_3) | instid1(VALU_DEP_3)
	v_pk_add_f32 v[20:21], v[4:5], v[14:15] neg_lo:[0,1] neg_hi:[0,1]
	v_pk_add_f32 v[26:27], v[14:15], v[4:5]
	s_wait_dscnt 0x0
	v_dual_sub_f32 v23, v11, v5 :: v_dual_add_f32 v15, v10, v16
	v_dual_mov_b32 v10, v5 :: v_dual_mov_b32 v26, v20
	v_dual_mul_f32 v4, v11, v3 :: v_dual_mov_b32 v16, v11
	v_dual_mov_b32 v29, 0x40400000 :: v_dual_mov_b32 v28, v11
	s_delay_alu instid0(VALU_DEP_3) | instskip(NEXT) | instid1(VALU_DEP_3)
	v_pk_mul_f32 v[30:31], v[26:27], v[26:27]
	v_pk_fma_f32 v[18:19], v[18:19], v[24:25], v[4:5] op_sel_hi:[1,1,0] neg_lo:[1,0,0] neg_hi:[1,0,0]
	v_pk_mul_f32 v[24:25], v[10:11], v[10:11]
	v_mov_b32_e32 v32, v5
	v_pk_add_f32 v[36:37], v[12:13], v[16:17]
	v_pk_mul_f32 v[34:35], v[26:27], v[30:31]
	v_dual_mov_b32 v26, v11 :: v_dual_mov_b32 v36, v12
	v_dual_mul_f32 v38, v20, v5 :: v_dual_mov_b32 v18, v5
	s_delay_alu instid0(VALU_DEP_3) | instskip(NEXT) | instid1(VALU_DEP_4)
	v_mul_f32_e32 v4, v11, v34
	v_pk_mul_f32 v[34:35], v[20:21], v[34:35]
	v_mov_b32_e32 v35, v27
	s_delay_alu instid0(VALU_DEP_4) | instskip(NEXT) | instid1(VALU_DEP_4)
	v_div_scale_f32 v21, null, v27, v27, v38
	v_mul_f32_e32 v4, v4, v5
	v_mov_b32_e32 v31, v20
	s_delay_alu instid0(VALU_DEP_4) | instskip(NEXT) | instid1(VALU_DEP_4)
	v_pk_mul_f32 v[34:35], v[26:27], v[34:35]
	v_rcp_f32_e32 v39, v21
	s_delay_alu instid0(VALU_DEP_3) | instskip(SKIP_3) | instid1(VALU_DEP_4)
	v_dual_mov_b32 v17, v25 :: v_dual_mul_f32 v23, v23, v4
	v_dual_fma_f32 v4, -v11, v5, v25 :: v_dual_mov_b32 v33, v24
	v_pk_mul_f32 v[10:11], v[28:29], v[30:31]
	v_div_scale_f32 v29, vcc_lo, v38, v27, v38
	v_div_scale_f32 v40, null, v35, v35, v23
	s_delay_alu instid0(TRANS32_DEP_1) | instskip(SKIP_2) | instid1(VALU_DEP_4)
	v_fma_f32 v25, -v21, v39, 1.0
	v_add_f32_e32 v24, v24, v4
	v_pk_mul_f32 v[10:11], v[10:11], v[18:19]
	v_rcp_f32_e32 v28, v40
	v_pk_mul_f32 v[12:13], v[12:13], v[32:33] op_sel:[1,0] op_sel_hi:[0,1]
	v_div_scale_f32 v33, s0, v23, v35, v23
	s_delay_alu instid0(VALU_DEP_3) | instskip(SKIP_1) | instid1(TRANS32_DEP_1)
	v_div_scale_f32 v31, null, v27, v27, v11
	v_mov_b32_e32 v26, v5
	v_fma_f32 v4, -v40, v28, 1.0
	v_fmac_f32_e32 v39, v25, v39
	v_pk_fma_f32 v[18:19], v[16:17], v[2:3], v[12:13]
	v_rcp_f32_e32 v18, v31
	v_div_scale_f32 v42, null, v27, v27, v10
	v_fmac_f32_e32 v28, v4, v28
	v_pk_mul_f32 v[4:5], v[34:35], v[26:27]
	v_pk_fma_f32 v[12:13], v[16:17], v[2:3], v[12:13] neg_lo:[0,0,1] neg_hi:[0,0,1]
	s_delay_alu instid0(VALU_DEP_4) | instskip(NEXT) | instid1(VALU_DEP_3)
	v_rcp_f32_e32 v34, v42
	v_dual_mov_b32 v13, v19 :: v_dual_mul_f32 v41, v33, v28
	s_delay_alu instid0(VALU_DEP_3) | instskip(NEXT) | instid1(VALU_DEP_2)
	v_dual_mul_f32 v32, v29, v39 :: v_dual_mul_f32 v4, v24, v4
	v_fma_f32 v26, -v40, v41, v33
	s_delay_alu instid0(VALU_DEP_2) | instskip(NEXT) | instid1(VALU_DEP_3)
	v_fma_f32 v25, -v21, v32, v29
	v_div_scale_f32 v19, null, v5, v5, v4
	s_delay_alu instid0(VALU_DEP_2) | instskip(SKIP_1) | instid1(VALU_DEP_1)
	v_fmac_f32_e32 v32, v25, v39
	v_fma_f32 v25, -v31, v18, 1.0
	v_fmac_f32_e32 v18, v25, v18
	v_mov_b64_e32 v[24:25], 0x40c0000040800000
	s_delay_alu instid0(VALU_DEP_4) | instskip(SKIP_2) | instid1(VALU_DEP_3)
	v_dual_fma_f32 v29, -v21, v32, v29 :: v_dual_mov_b32 v21, v30
	v_fmac_f32_e32 v41, v26, v28
	v_div_scale_f32 v30, s1, v11, v27, v11
	v_div_fmas_f32 v26, v29, v39, v32
	s_delay_alu instid0(VALU_DEP_4) | instskip(NEXT) | instid1(VALU_DEP_3)
	v_pk_mul_f32 v[16:17], v[20:21], v[24:25]
	v_dual_fma_f32 v29, -v40, v41, v33 :: v_dual_mul_f32 v2, v30, v18
	v_fma_f32 v32, -v42, v34, 1.0
	s_mov_b32 vcc_lo, s0
	s_delay_alu instid0(VALU_DEP_3) | instskip(SKIP_3) | instid1(VALU_DEP_3)
	v_pk_mul_f32 v[12:13], v[16:17], v[12:13]
	v_rcp_f32_e32 v17, v19
	v_div_fmas_f32 v21, v29, v28, v41
	v_div_scale_f32 v16, s2, v10, v27, v10
	v_div_scale_f32 v20, null, v35, v35, v13
	s_mov_b32 vcc_lo, s1
	s_delay_alu instid0(TRANS32_DEP_1) | instskip(SKIP_3) | instid1(VALU_DEP_3)
	v_fma_f32 v25, -v19, v17, 1.0
	v_fmac_f32_e32 v34, v32, v34
	v_rcp_f32_e32 v28, v20
	v_div_scale_f32 v32, null, v27, v27, v12
	v_fmac_f32_e32 v17, v25, v17
	v_div_scale_f32 v25, s0, v4, v5, v4
	s_delay_alu instid0(VALU_DEP_3) | instskip(SKIP_1) | instid1(TRANS32_DEP_2)
	v_rcp_f32_e32 v39, v32
	v_fma_f32 v24, -v31, v2, v30
	v_fma_f32 v33, -v20, v28, 1.0
	s_delay_alu instid0(VALU_DEP_3) | instskip(NEXT) | instid1(VALU_DEP_2)
	v_dual_mul_f32 v29, v16, v34 :: v_dual_mul_f32 v40, v25, v17
	v_dual_fmac_f32 v28, v33, v28 :: v_dual_fmac_f32 v2, v24, v18
	s_delay_alu instid0(VALU_DEP_2) | instskip(NEXT) | instid1(TRANS32_DEP_1)
	v_fma_f32 v24, -v42, v29, v16
	v_fma_f32 v41, -v32, v39, 1.0
	v_div_scale_f32 v33, s3, v13, v35, v13
	s_delay_alu instid0(VALU_DEP_4) | instskip(NEXT) | instid1(VALU_DEP_3)
	v_fma_f32 v30, -v31, v2, v30
	v_dual_fmac_f32 v29, v24, v34 :: v_dual_fmac_f32 v39, v41, v39
	v_fma_f32 v24, -v19, v40, v25
	v_div_scale_f32 v41, s4, v12, v27, v12
	v_mul_f32_e32 v31, v33, v28
	v_div_fmas_f32 v18, v30, v18, v2
	v_fma_f32 v2, -v42, v29, v16
	s_delay_alu instid0(VALU_DEP_4) | instskip(SKIP_2) | instid1(VALU_DEP_3)
	v_dual_fmac_f32 v40, v24, v17 :: v_dual_mul_f32 v24, v41, v39
	s_mov_b32 vcc_lo, s2
	v_fma_f32 v16, -v20, v31, v33
	v_div_fmas_f32 v29, v2, v34, v29
	s_delay_alu instid0(VALU_DEP_3) | instskip(SKIP_3) | instid1(VALU_DEP_2)
	v_fma_f32 v2, -v19, v40, v25
	v_fma_f32 v19, -v32, v24, v41
	s_mov_b32 vcc_lo, s0
	v_dual_fmac_f32 v31, v16, v28 :: v_dual_mov_b32 v16, v3
	v_fmac_f32_e32 v24, v19, v39
	v_div_fmas_f32 v2, v2, v17, v40
	s_mov_b32 vcc_lo, s3
	v_div_fixup_f32 v17, v21, v35, v23
	s_delay_alu instid0(VALU_DEP_2) | instskip(SKIP_1) | instid1(VALU_DEP_2)
	v_div_fixup_f32 v2, v2, v5, v4
	v_div_fixup_f32 v5, v18, v27, v11
	v_dual_add_f32 v15, v15, v2 :: v_dual_fma_f32 v3, -v20, v31, v33
	s_delay_alu instid0(VALU_DEP_1) | instskip(SKIP_1) | instid1(VALU_DEP_1)
	v_div_fmas_f32 v3, v3, v28, v31
	s_mov_b32 vcc_lo, s4
	v_div_fixup_f32 v13, v3, v35, v13
	v_fma_f32 v4, -v32, v24, v41
	v_pk_add_f32 v[2:3], v[36:37], v[16:17]
	s_delay_alu instid0(VALU_DEP_3) | instskip(NEXT) | instid1(VALU_DEP_3)
	v_add_f32_e32 v11, v13, v15
	v_div_fmas_f32 v19, v4, v39, v24
	v_div_fixup_f32 v4, v29, v27, v10
	v_cmp_lt_f32_e32 vcc_lo, v9, v7
	s_delay_alu instid0(VALU_DEP_3) | instskip(NEXT) | instid1(VALU_DEP_3)
	v_div_fixup_f32 v10, v19, v27, v12
	v_pk_add_f32 v[12:13], v[4:5], v[2:3]
	v_cndmask_b32_e32 v9, v9, v7, vcc_lo
	v_div_fixup_f32 v7, v26, v27, v38
	v_cmp_lt_f32_e32 vcc_lo, v6, v8
	v_add_f32_e32 v26, v10, v11
	s_delay_alu instid0(VALU_DEP_3) | instskip(NEXT) | instid1(VALU_DEP_2)
	v_dual_add_f32 v14, v14, v7 :: v_dual_cndmask_b32 v8, v8, v6, vcc_lo
	v_mov_b64_e32 v[10:11], v[26:27]
.LBB27_114:
	s_or_b32 exec_lo, exec_lo, s6
	s_delay_alu instid0(SALU_CYCLE_1)
	s_mov_b32 s0, exec_lo
	v_cmpx_eq_u32_e32 0, v1
	s_cbranch_execz .LBB27_116
; %bb.115:
	s_wait_dscnt 0x1
	v_lshrrev_b32_e32 v2, 5, v0
	s_delay_alu instid0(VALU_DEP_1)
	v_mul_u32_u24_e32 v2, 28, v2
	ds_store_2addr_b32 v2, v11, v8 offset1:1
	ds_store_2addr_b32 v2, v9, v14 offset0:2 offset1:3
	ds_store_2addr_b32 v2, v12, v13 offset0:4 offset1:5
	ds_store_b32 v2, v10 offset:24
.LBB27_116:
	s_or_b32 exec_lo, exec_lo, s0
	s_delay_alu instid0(SALU_CYCLE_1)
	s_mov_b32 s6, exec_lo
	s_wait_dscnt 0x0
	s_barrier_signal -1
	s_barrier_wait -1
	v_cmpx_gt_u32_e32 8, v0
	s_cbranch_execz .LBB27_124
; %bb.117:
	v_mul_u32_u24_e32 v4, 28, v1
	v_and_b32_e32 v20, 7, v1
	s_add_co_i32 s5, s5, 31
	ds_load_2addr_b32 v[2:3], v4 offset1:3
	ds_load_2addr_b32 v[8:9], v4 offset0:1 offset1:2
	ds_load_2addr_b32 v[12:13], v4 offset0:4 offset1:5
	ds_load_b32 v10, v4 offset:24
	v_cmp_ne_u32_e32 vcc_lo, 7, v20
	s_lshr_b32 s5, s5, 5
	v_add_co_ci_u32_e64 v4, null, 0, v1, vcc_lo
	s_delay_alu instid0(VALU_DEP_1)
	v_lshlrev_b32_e32 v4, 2, v4
	s_wait_dscnt 0x3
	ds_bpermute_b32 v15, v4, v2
	s_wait_dscnt 0x3
	ds_bpermute_b32 v21, v4, v8
	ds_bpermute_b32 v23, v4, v9
	;; [unrolled: 1-line block ×3, first 2 shown]
	s_wait_dscnt 0x5
	ds_bpermute_b32 v7, v4, v12
	ds_bpermute_b32 v6, v4, v13
	s_wait_dscnt 0x6
	ds_bpermute_b32 v24, v4, v10
	v_dual_mov_b32 v11, v2 :: v_dual_add_nc_u32 v4, 1, v20
	v_mov_b64_e32 v[16:17], v[2:3]
	v_dual_mov_b32 v19, v13 :: v_dual_mov_b32 v18, v12
	s_delay_alu instid0(VALU_DEP_3) | instskip(NEXT) | instid1(VALU_DEP_4)
	v_cmp_gt_u32_e32 vcc_lo, s5, v4
	v_mov_b64_e32 v[4:5], v[10:11]
	s_and_saveexec_b32 s7, vcc_lo
	s_cbranch_execz .LBB27_119
; %bb.118:
	v_dual_mov_b32 v4, v3 :: v_dual_mov_b32 v5, v2
	s_wait_dscnt 0x0
	v_add_f32_e32 v38, v10, v24
	v_dual_mov_b32 v17, v6 :: v_dual_mov_b32 v26, v2
	v_dual_sub_f32 v35, v2, v15 :: v_dual_mov_b32 v27, v12
	v_pk_add_f32 v[18:19], v[14:15], v[4:5] neg_lo:[0,1] neg_hi:[0,1]
	v_pk_add_f32 v[10:11], v[4:5], v[14:15]
	v_dual_mov_b32 v4, v7 :: v_dual_mov_b32 v5, v15
	s_delay_alu instid0(VALU_DEP_3) | instskip(SKIP_2) | instid1(VALU_DEP_3)
	v_dual_mov_b32 v16, v15 :: v_dual_mul_f32 v39, v18, v15
	v_mov_b32_e32 v10, v18
	v_dual_mul_f32 v14, v2, v7 :: v_dual_mov_b32 v29, 0x40400000
	v_pk_add_f32 v[36:37], v[12:13], v[16:17]
	s_delay_alu instid0(VALU_DEP_4) | instskip(NEXT) | instid1(VALU_DEP_4)
	v_div_scale_f32 v41, null, v11, v11, v39
	v_pk_mul_f32 v[24:25], v[10:11], v[10:11]
	v_dual_mov_b32 v32, v15 :: v_dual_mov_b32 v33, v2
	s_delay_alu instid0(VALU_DEP_3) | instskip(SKIP_1) | instid1(VALU_DEP_3)
	v_rcp_f32_e32 v42, v41
	v_dual_mov_b32 v28, v2 :: v_dual_mul_f32 v40, v2, v2
	v_pk_mul_f32 v[30:31], v[10:11], v[24:25]
	v_mov_b32_e32 v10, v2
	v_pk_fma_f32 v[4:5], v[26:27], v[4:5], v[14:15] op_sel_hi:[1,1,0] neg_lo:[1,0,0] neg_hi:[1,0,0]
	v_mov_b32_e32 v36, v12
	s_delay_alu instid0(TRANS32_DEP_1) | instskip(SKIP_3) | instid1(VALU_DEP_4)
	v_fma_f32 v17, -v41, v42, 1.0
	v_mul_f32_e32 v25, v2, v30
	v_pk_mul_f32 v[30:31], v[18:19], v[30:31]
	v_dual_mov_b32 v31, v11 :: v_dual_mov_b32 v34, v15
	v_fmac_f32_e32 v42, v17, v42
	s_delay_alu instid0(VALU_DEP_4) | instskip(NEXT) | instid1(VALU_DEP_3)
	v_dual_mul_f32 v19, v25, v15 :: v_dual_mov_b32 v25, v18
	v_pk_mul_f32 v[30:31], v[10:11], v[30:31]
	v_div_scale_f32 v10, vcc_lo, v39, v11, v39
	s_delay_alu instid0(VALU_DEP_3) | instskip(SKIP_2) | instid1(VALU_DEP_4)
	v_mul_f32_e32 v43, v35, v19
	v_pk_mul_f32 v[16:17], v[32:33], v[16:17] op_sel_hi:[1,0]
	v_pk_mul_f32 v[26:27], v[28:29], v[24:25]
	v_dual_mul_f32 v14, v10, v42 :: v_dual_mov_b32 v4, v15
	s_delay_alu instid0(VALU_DEP_4) | instskip(NEXT) | instid1(VALU_DEP_4)
	v_div_scale_f32 v19, null, v31, v31, v43
	v_dual_fma_f32 v17, v2, v2, -v17 :: v_dual_mov_b32 v35, v16
	s_delay_alu instid0(VALU_DEP_3) | instskip(NEXT) | instid1(VALU_DEP_3)
	v_fma_f32 v25, -v41, v14, v10
	v_rcp_f32_e32 v32, v19
	v_pk_mul_f32 v[4:5], v[26:27], v[4:5]
	s_delay_alu instid0(VALU_DEP_3) | instskip(NEXT) | instid1(VALU_DEP_2)
	v_pk_mul_f32 v[12:13], v[12:13], v[34:35] op_sel:[1,0] op_sel_hi:[0,1]
	v_div_scale_f32 v33, null, v11, v11, v5
	s_delay_alu instid0(TRANS32_DEP_1) | instskip(SKIP_2) | instid1(VALU_DEP_4)
	v_fma_f32 v28, -v19, v32, 1.0
	v_fmac_f32_e32 v14, v25, v42
	v_div_scale_f32 v25, s0, v43, v31, v43
	v_rcp_f32_e32 v34, v33
	s_delay_alu instid0(VALU_DEP_3) | instskip(NEXT) | instid1(VALU_DEP_3)
	v_fmac_f32_e32 v32, v28, v32
	v_dual_add_f32 v16, v16, v17 :: v_dual_fma_f32 v10, -v41, v14, v10
	v_mov_b64_e32 v[28:29], 0x40c0000040800000
	v_div_scale_f32 v35, null, v11, v11, v4
	s_delay_alu instid0(VALU_DEP_4) | instskip(NEXT) | instid1(VALU_DEP_4)
	v_mul_f32_e32 v41, v25, v32
	v_div_fmas_f32 v14, v10, v42, v14
	v_mov_b32_e32 v10, v15
	s_mov_b32 vcc_lo, s0
	s_delay_alu instid0(VALU_DEP_3) | instskip(NEXT) | instid1(VALU_DEP_3)
	v_fma_f32 v17, -v19, v41, v25
	v_div_fixup_f32 v26, v14, v11, v39
	s_delay_alu instid0(VALU_DEP_3) | instskip(SKIP_1) | instid1(VALU_DEP_3)
	v_pk_mul_f32 v[14:15], v[30:31], v[10:11]
	v_fma_f32 v10, -v33, v34, 1.0
	v_dual_fmac_f32 v41, v17, v32 :: v_dual_add_f32 v17, v3, v26
	v_mov_b32_e32 v3, v40
	s_delay_alu instid0(VALU_DEP_4) | instskip(NEXT) | instid1(VALU_DEP_3)
	v_mul_f32_e32 v14, v16, v14
	v_dual_fmac_f32 v34, v10, v34 :: v_dual_fma_f32 v16, -v19, v41, v25
	v_mov_b32_e32 v19, v24
	s_delay_alu instid0(VALU_DEP_4) | instskip(SKIP_2) | instid1(VALU_DEP_4)
	v_pk_fma_f32 v[26:27], v[2:3], v[6:7], v[12:13]
	v_pk_fma_f32 v[2:3], v[2:3], v[6:7], v[12:13] neg_lo:[0,0,1] neg_hi:[0,0,1]
	v_div_scale_f32 v10, s1, v5, v11, v5
	v_pk_mul_f32 v[12:13], v[18:19], v[28:29]
	s_delay_alu instid0(VALU_DEP_4) | instskip(SKIP_1) | instid1(VALU_DEP_3)
	v_mov_b32_e32 v3, v27
	v_rcp_f32_e32 v25, v35
	v_mul_f32_e32 v6, v10, v34
	v_div_scale_f32 v18, null, v15, v15, v14
	s_delay_alu instid0(VALU_DEP_3) | instskip(SKIP_1) | instid1(VALU_DEP_3)
	v_pk_mul_f32 v[2:3], v[12:13], v[2:3]
	v_div_scale_f32 v12, s2, v4, v11, v4
	v_rcp_f32_e32 v13, v18
	s_delay_alu instid0(TRANS32_DEP_2) | instskip(NEXT) | instid1(VALU_DEP_3)
	v_fma_f32 v24, -v35, v25, 1.0
	v_div_scale_f32 v19, null, v31, v31, v3
	v_div_scale_f32 v29, null, v11, v11, v2
	s_delay_alu instid0(VALU_DEP_3) | instskip(NEXT) | instid1(VALU_DEP_3)
	v_dual_fmac_f32 v25, v24, v25 :: v_dual_fma_f32 v24, -v33, v6, v10
	v_rcp_f32_e32 v27, v19
	s_delay_alu instid0(TRANS32_DEP_2)
	v_fma_f32 v26, -v18, v13, 1.0
	v_div_fmas_f32 v16, v16, v32, v41
	v_rcp_f32_e32 v32, v29
	v_fmac_f32_e32 v6, v24, v34
	s_mov_b32 vcc_lo, s1
	v_fmac_f32_e32 v13, v26, v13
	v_div_scale_f32 v26, s0, v14, v15, v14
	v_fma_f32 v30, -v19, v27, 1.0
	v_mul_f32_e32 v28, v12, v25
	v_fma_f32 v40, -v29, v32, 1.0
	s_delay_alu instid0(VALU_DEP_4) | instskip(NEXT) | instid1(VALU_DEP_3)
	v_mul_f32_e32 v39, v26, v13
	v_dual_fmac_f32 v27, v30, v27 :: v_dual_fma_f32 v24, -v35, v28, v12
	v_div_scale_f32 v30, s3, v3, v31, v3
	s_delay_alu instid0(VALU_DEP_4) | instskip(NEXT) | instid1(VALU_DEP_3)
	v_dual_fma_f32 v10, -v33, v6, v10 :: v_dual_fmac_f32 v32, v40, v32
	v_dual_fmac_f32 v28, v24, v25 :: v_dual_fma_f32 v24, -v18, v39, v26
	s_delay_alu instid0(VALU_DEP_3) | instskip(SKIP_1) | instid1(VALU_DEP_4)
	v_mul_f32_e32 v33, v30, v27
	v_div_scale_f32 v40, s4, v2, v11, v2
	v_div_fmas_f32 v10, v10, v34, v6
	s_delay_alu instid0(VALU_DEP_4) | instskip(NEXT) | instid1(VALU_DEP_3)
	v_dual_fma_f32 v6, -v35, v28, v12 :: v_dual_fmac_f32 v39, v24, v13
	v_dual_fma_f32 v12, -v19, v33, v30 :: v_dual_mul_f32 v24, v40, v32
	s_mov_b32 vcc_lo, s2
	s_delay_alu instid0(VALU_DEP_3) | instskip(NEXT) | instid1(VALU_DEP_3)
	v_div_fixup_f32 v5, v10, v11, v5
	v_div_fmas_f32 v25, v6, v25, v28
	s_delay_alu instid0(VALU_DEP_3) | instskip(SKIP_2) | instid1(VALU_DEP_3)
	v_dual_fma_f32 v6, -v18, v39, v26 :: v_dual_fma_f32 v18, -v29, v24, v40
	v_dual_fmac_f32 v33, v12, v27 :: v_dual_mov_b32 v12, v7
	s_mov_b32 vcc_lo, s0
	v_div_fixup_f32 v4, v25, v11, v4
	s_delay_alu instid0(VALU_DEP_3) | instskip(SKIP_4) | instid1(VALU_DEP_3)
	v_fmac_f32_e32 v24, v18, v32
	v_div_fmas_f32 v6, v6, v13, v39
	v_fma_f32 v7, -v19, v33, v30
	s_mov_b32 vcc_lo, s3
	v_div_fixup_f32 v13, v16, v31, v43
	v_div_fixup_f32 v6, v6, v15, v14
	v_fma_f32 v14, -v29, v24, v40
	v_div_fmas_f32 v7, v7, v27, v33
	s_mov_b32 vcc_lo, s4
	s_delay_alu instid0(VALU_DEP_2) | instskip(NEXT) | instid1(VALU_DEP_2)
	v_div_fmas_f32 v14, v14, v32, v24
	v_div_fixup_f32 v3, v7, v31, v3
	v_cmp_lt_f32_e32 vcc_lo, v9, v23
	v_add_f32_e32 v15, v38, v6
	v_pk_add_f32 v[6:7], v[36:37], v[12:13]
	v_div_fixup_f32 v2, v14, v11, v2
	v_cndmask_b32_e32 v9, v9, v23, vcc_lo
	v_cmp_lt_f32_e32 vcc_lo, v21, v8
	v_add_f32_e32 v3, v3, v15
	v_pk_add_f32 v[18:19], v[4:5], v[6:7]
	s_delay_alu instid0(VALU_DEP_2) | instskip(SKIP_1) | instid1(VALU_DEP_3)
	v_dual_cndmask_b32 v8, v8, v21, vcc_lo :: v_dual_add_f32 v10, v2, v3
	v_mov_b32_e32 v3, v17
	v_mov_b64_e32 v[12:13], v[18:19]
	v_mov_b32_e32 v2, v11
	s_delay_alu instid0(VALU_DEP_4)
	v_mov_b64_e32 v[4:5], v[10:11]
.LBB27_119:
	s_or_b32 exec_lo, exec_lo, s7
	v_cmp_gt_u32_e32 vcc_lo, 6, v20
	s_wait_dscnt 0x5
	v_add_nc_u32_e32 v21, 2, v20
	s_mov_b32 s7, exec_lo
	v_cndmask_b32_e64 v5, 0, 2, vcc_lo
	s_delay_alu instid0(VALU_DEP_1)
	v_add_lshl_u32 v5, v5, v1, 2
	ds_bpermute_b32 v15, v5, v2
	ds_bpermute_b32 v1, v5, v8
	;; [unrolled: 1-line block ×3, first 2 shown]
	s_wait_dscnt 0x6
	ds_bpermute_b32 v14, v5, v17
	s_wait_dscnt 0x6
	ds_bpermute_b32 v7, v5, v18
	;; [unrolled: 2-line block ×3, first 2 shown]
	ds_bpermute_b32 v5, v5, v4
	v_cmpx_gt_u32_e64 s5, v21
	s_cbranch_execz .LBB27_121
; %bb.120:
	s_wait_dscnt 0x0
	v_dual_add_f32 v21, v10, v5 :: v_dual_mov_b32 v10, v15
	v_dual_mov_b32 v24, v11 :: v_dual_mov_b32 v25, v12
	v_dual_mov_b32 v26, v7 :: v_dual_mov_b32 v27, v15
	s_delay_alu instid0(VALU_DEP_3) | instskip(SKIP_2) | instid1(VALU_DEP_3)
	v_pk_mul_f32 v[18:19], v[10:11], v[10:11]
	v_dual_mov_b32 v10, v3 :: v_dual_mov_b32 v17, v6
	v_dual_mul_f32 v2, v11, v7 :: v_dual_mov_b32 v31, 0x40400000
	v_mov_b32_e32 v33, v19
	s_delay_alu instid0(VALU_DEP_3) | instskip(SKIP_1) | instid1(VALU_DEP_4)
	v_pk_add_f32 v[28:29], v[14:15], v[10:11] neg_lo:[0,1] neg_hi:[0,1]
	v_pk_add_f32 v[4:5], v[10:11], v[14:15]
	v_pk_fma_f32 v[24:25], v[24:25], v[26:27], v[2:3] op_sel_hi:[1,1,0] neg_lo:[1,0,0] neg_hi:[1,0,0]
	v_mov_b32_e32 v30, v11
	v_pk_add_f32 v[38:39], v[12:13], v[16:17]
	v_dual_mov_b32 v4, v28 :: v_dual_mov_b32 v24, v15
	v_dual_mul_f32 v17, v28, v15 :: v_dual_fma_f32 v2, -v11, v15, v19
	v_mov_b32_e32 v35, v18
	s_delay_alu instid0(VALU_DEP_3) | instskip(SKIP_1) | instid1(VALU_DEP_4)
	v_pk_mul_f32 v[36:37], v[4:5], v[4:5]
	v_dual_sub_f32 v14, v11, v15 :: v_dual_mov_b32 v32, v11
	v_div_scale_f32 v23, null, v5, v5, v17
	s_delay_alu instid0(VALU_DEP_3) | instskip(SKIP_2) | instid1(VALU_DEP_4)
	v_pk_mul_f32 v[26:27], v[4:5], v[36:37]
	v_dual_mov_b32 v4, v11 :: v_dual_mov_b32 v34, v15
	v_mov_b32_e32 v38, v12
	v_rcp_f32_e32 v40, v23
	s_delay_alu instid0(VALU_DEP_3) | instskip(SKIP_3) | instid1(VALU_DEP_4)
	v_mul_f32_e32 v19, v11, v26
	v_pk_mul_f32 v[10:11], v[28:29], v[26:27]
	v_dual_mov_b32 v11, v5 :: v_dual_mov_b32 v37, v28
	v_pk_mul_f32 v[12:13], v[12:13], v[34:35] op_sel:[1,0] op_sel_hi:[0,1]
	v_mul_f32_e32 v19, v19, v15
	v_div_scale_f32 v29, vcc_lo, v17, v5, v17
	s_delay_alu instid0(VALU_DEP_4) | instskip(SKIP_1) | instid1(VALU_DEP_4)
	v_pk_mul_f32 v[10:11], v[4:5], v[10:11]
	v_fma_f32 v4, -v23, v40, 1.0
	v_mul_f32_e32 v41, v14, v19
	v_add_f32_e32 v2, v18, v2
	v_pk_mul_f32 v[18:19], v[30:31], v[36:37]
	v_pk_fma_f32 v[26:27], v[32:33], v[6:7], v[12:13] neg_lo:[0,0,1] neg_hi:[0,0,1]
	v_dual_fmac_f32 v40, v4, v40 :: v_dual_mov_b32 v4, v15
	v_div_scale_f32 v30, null, v11, v11, v41
	v_pk_fma_f32 v[12:13], v[32:33], v[6:7], v[12:13]
	v_pk_mul_f32 v[18:19], v[18:19], v[24:25]
	v_div_scale_f32 v27, s0, v41, v11, v41
	s_delay_alu instid0(VALU_DEP_4) | instskip(SKIP_1) | instid1(VALU_DEP_3)
	v_rcp_f32_e32 v31, v30
	v_mov_b64_e32 v[24:25], 0x40c0000040800000
	v_div_scale_f32 v6, null, v5, v5, v19
	v_div_scale_f32 v32, null, v5, v5, v18
	v_div_scale_f32 v34, s1, v19, v5, v19
	s_delay_alu instid0(TRANS32_DEP_1) | instskip(SKIP_2) | instid1(VALU_DEP_1)
	v_fma_f32 v14, -v30, v31, 1.0
	v_mul_f32_e32 v12, v29, v40
	v_rcp_f32_e32 v33, v6
	v_dual_fmac_f32 v31, v14, v31 :: v_dual_fma_f32 v15, -v23, v12, v29
	s_delay_alu instid0(VALU_DEP_1) | instskip(NEXT) | instid1(VALU_DEP_2)
	v_mul_f32_e32 v35, v27, v31
	v_fmac_f32_e32 v12, v15, v40
	v_pk_mul_f32 v[14:15], v[10:11], v[4:5]
	s_delay_alu instid0(TRANS32_DEP_1) | instskip(SKIP_1) | instid1(VALU_DEP_3)
	v_fma_f32 v10, -v6, v33, 1.0
	v_rcp_f32_e32 v4, v32
	v_dual_fma_f32 v37, -v30, v35, v27 :: v_dual_fma_f32 v23, -v23, v12, v29
	s_delay_alu instid0(VALU_DEP_3) | instskip(NEXT) | instid1(VALU_DEP_2)
	v_dual_mov_b32 v29, v36 :: v_dual_mul_f32 v2, v2, v14
	v_dual_fmac_f32 v33, v10, v33 :: v_dual_fmac_f32 v35, v37, v31
	s_delay_alu instid0(VALU_DEP_3) | instskip(NEXT) | instid1(TRANS32_DEP_1)
	v_div_fmas_f32 v12, v23, v40, v12
	v_fma_f32 v14, -v32, v4, 1.0
	s_mov_b32 vcc_lo, s0
	s_delay_alu instid0(VALU_DEP_3) | instskip(NEXT) | instid1(VALU_DEP_3)
	v_fma_f32 v10, -v30, v35, v27
	v_div_fixup_f32 v17, v12, v5, v17
	v_mov_b32_e32 v27, v13
	v_pk_mul_f32 v[12:13], v[28:29], v[24:25]
	v_div_scale_f32 v24, null, v15, v15, v2
	v_fmac_f32_e32 v4, v14, v4
	v_div_scale_f32 v14, s2, v18, v5, v18
	s_delay_alu instid0(VALU_DEP_4) | instskip(NEXT) | instid1(VALU_DEP_4)
	v_pk_mul_f32 v[12:13], v[12:13], v[26:27]
	v_rcp_f32_e32 v25, v24
	v_add_f32_e32 v17, v3, v17
	s_delay_alu instid0(VALU_DEP_2) | instskip(NEXT) | instid1(VALU_DEP_2)
	v_div_scale_f32 v26, null, v11, v11, v13
	v_mov_b32_e32 v3, v17
	s_delay_alu instid0(TRANS32_DEP_1) | instskip(NEXT) | instid1(VALU_DEP_3)
	v_fma_f32 v28, -v24, v25, 1.0
	v_rcp_f32_e32 v29, v26
	s_delay_alu instid0(VALU_DEP_1) | instskip(SKIP_2) | instid1(TRANS32_DEP_1)
	v_fmac_f32_e32 v25, v28, v25
	v_div_fmas_f32 v10, v10, v31, v35
	v_div_scale_f32 v31, null, v5, v5, v12
	v_fma_f32 v35, -v26, v29, 1.0
	v_mul_f32_e32 v30, v14, v4
	v_div_scale_f32 v28, s0, v2, v15, v2
	s_delay_alu instid0(VALU_DEP_4) | instskip(NEXT) | instid1(VALU_DEP_3)
	v_rcp_f32_e32 v36, v31
	v_fmac_f32_e32 v29, v35, v29
	v_mul_f32_e32 v23, v34, v33
	s_delay_alu instid0(VALU_DEP_3) | instskip(SKIP_4) | instid1(VALU_DEP_2)
	v_mul_f32_e32 v37, v28, v25
	v_div_scale_f32 v35, s3, v13, v11, v13
	s_mov_b32 vcc_lo, s1
	v_fma_f32 v27, -v6, v23, v34
	v_fma_f32 v40, -v31, v36, 1.0
	v_dual_fmac_f32 v23, v27, v33 :: v_dual_fma_f32 v27, -v32, v30, v14
	s_delay_alu instid0(VALU_DEP_2) | instskip(SKIP_1) | instid1(VALU_DEP_3)
	v_fmac_f32_e32 v36, v40, v36
	v_div_scale_f32 v40, s4, v12, v5, v12
	v_fma_f32 v6, -v6, v23, v34
	s_delay_alu instid0(VALU_DEP_4) | instskip(SKIP_1) | instid1(VALU_DEP_3)
	v_dual_fmac_f32 v30, v27, v4 :: v_dual_fma_f32 v27, -v24, v37, v28
	v_mul_f32_e32 v34, v35, v29
	v_div_fmas_f32 v23, v6, v33, v23
	s_mov_b32 vcc_lo, s2
	s_delay_alu instid0(VALU_DEP_3) | instskip(SKIP_2) | instid1(VALU_DEP_2)
	v_dual_fmac_f32 v37, v27, v25 :: v_dual_mul_f32 v27, v40, v36
	v_fma_f32 v6, -v32, v30, v14
	v_fma_f32 v14, -v26, v34, v35
	v_div_fmas_f32 v4, v6, v4, v30
	s_delay_alu instid0(VALU_DEP_4) | instskip(NEXT) | instid1(VALU_DEP_3)
	v_fma_f32 v6, -v24, v37, v28
	v_dual_fmac_f32 v34, v14, v29 :: v_dual_fma_f32 v24, -v31, v27, v40
	s_mov_b32 vcc_lo, s0
	s_delay_alu instid0(VALU_DEP_2) | instskip(SKIP_1) | instid1(VALU_DEP_2)
	v_div_fmas_f32 v6, v6, v25, v37
	s_mov_b32 vcc_lo, s3
	v_dual_fmac_f32 v27, v24, v36 :: v_dual_mov_b32 v24, v7
	v_fma_f32 v7, -v26, v34, v35
	s_delay_alu instid0(VALU_DEP_3) | instskip(SKIP_1) | instid1(VALU_DEP_4)
	v_div_fixup_f32 v2, v6, v15, v2
	v_div_fixup_f32 v25, v10, v11, v41
	v_fma_f32 v6, -v31, v27, v40
	v_div_fixup_f32 v10, v4, v5, v18
	v_div_fmas_f32 v7, v7, v29, v34
	s_mov_b32 vcc_lo, s4
	v_add_f32_e32 v2, v21, v2
	v_div_fmas_f32 v14, v6, v36, v27
	v_cmp_lt_f32_e32 vcc_lo, v9, v16
	v_div_fixup_f32 v13, v7, v11, v13
	v_pk_add_f32 v[6:7], v[38:39], v[24:25]
	v_div_fixup_f32 v11, v23, v5, v19
	v_div_fixup_f32 v4, v14, v5, v12
	v_cndmask_b32_e32 v9, v9, v16, vcc_lo
	v_cmp_lt_f32_e32 vcc_lo, v1, v8
	v_add_f32_e32 v2, v13, v2
	v_pk_add_f32 v[18:19], v[10:11], v[6:7]
	v_cndmask_b32_e32 v8, v8, v1, vcc_lo
	s_delay_alu instid0(VALU_DEP_3) | instskip(NEXT) | instid1(VALU_DEP_3)
	v_add_f32_e32 v4, v4, v2
	v_mov_b64_e32 v[12:13], v[18:19]
	v_mov_b32_e32 v2, v5
	s_delay_alu instid0(VALU_DEP_3)
	v_mov_b64_e32 v[10:11], v[4:5]
.LBB27_121:
	s_or_b32 exec_lo, exec_lo, s7
	s_wait_dscnt 0x0
	v_or_b32_e32 v5, 16, v22
	ds_bpermute_b32 v15, v5, v2
	ds_bpermute_b32 v1, v5, v8
	;; [unrolled: 1-line block ×7, first 2 shown]
	v_add_nc_u32_e32 v5, 4, v20
	s_delay_alu instid0(VALU_DEP_1)
	v_cmp_gt_u32_e32 vcc_lo, s5, v5
	s_and_saveexec_b32 s5, vcc_lo
	s_cbranch_execz .LBB27_123
; %bb.122:
	s_wait_dscnt 0x0
	v_dual_add_f32 v38, v10, v4 :: v_dual_mov_b32 v10, v15
	v_dual_mov_b32 v5, v6 :: v_dual_mov_b32 v18, v11
	v_dual_mov_b32 v19, v12 :: v_dual_mov_b32 v20, v7
	v_mov_b32_e32 v21, v15
	s_delay_alu instid0(VALU_DEP_4) | instskip(SKIP_3) | instid1(VALU_DEP_3)
	v_pk_mul_f32 v[16:17], v[10:11], v[10:11]
	v_mov_b32_e32 v10, v3
	v_dual_mul_f32 v4, v11, v7 :: v_dual_mov_b32 v25, 0x40400000
	v_dual_mov_b32 v28, v11 :: v_dual_mov_b32 v30, v15
	v_pk_add_f32 v[22:23], v[14:15], v[10:11] neg_lo:[0,1] neg_hi:[0,1]
	v_pk_add_f32 v[26:27], v[10:11], v[14:15]
	v_mov_b32_e32 v24, v11
	v_pk_add_f32 v[36:37], v[12:13], v[4:5]
	v_pk_fma_f32 v[4:5], v[18:19], v[20:21], v[4:5] op_sel_hi:[1,1,0] neg_lo:[1,0,0] neg_hi:[1,0,0]
	v_dual_mov_b32 v26, v22 :: v_dual_fma_f32 v10, -v11, v15, v17
	v_dual_mov_b32 v31, v16 :: v_dual_sub_f32 v14, v11, v15
	v_dual_mov_b32 v4, v15 :: v_dual_mov_b32 v29, v17
	s_delay_alu instid0(VALU_DEP_3) | instskip(NEXT) | instid1(VALU_DEP_4)
	v_pk_mul_f32 v[34:35], v[26:27], v[26:27]
	v_add_f32_e32 v21, v16, v10
	v_mov_b32_e32 v36, v12
	v_pk_mul_f32 v[12:13], v[12:13], v[30:31] op_sel:[1,0] op_sel_hi:[0,1]
	v_mov_b64_e32 v[32:33], 0x40c0000040800000
	v_pk_mul_f32 v[18:19], v[26:27], v[34:35]
	v_dual_mul_f32 v20, v22, v15 :: v_dual_mov_b32 v26, v11
	s_delay_alu instid0(VALU_DEP_2) | instskip(NEXT) | instid1(VALU_DEP_3)
	v_dual_mov_b32 v35, v22 :: v_dual_mul_f32 v17, v11, v18
	v_pk_mul_f32 v[10:11], v[22:23], v[18:19]
	s_delay_alu instid0(VALU_DEP_3) | instskip(NEXT) | instid1(VALU_DEP_3)
	v_div_scale_f32 v23, null, v27, v27, v20
	v_dual_mov_b32 v11, v27 :: v_dual_mul_f32 v16, v17, v15
	v_pk_fma_f32 v[18:19], v[28:29], v[6:7], v[12:13] neg_lo:[0,0,1] neg_hi:[0,0,1]
	s_delay_alu instid0(VALU_DEP_3) | instskip(SKIP_1) | instid1(VALU_DEP_3)
	v_rcp_f32_e32 v30, v23
	v_pk_fma_f32 v[12:13], v[28:29], v[6:7], v[12:13]
	v_pk_mul_f32 v[10:11], v[26:27], v[10:11]
	v_dual_mul_f32 v39, v14, v16 :: v_dual_mov_b32 v26, v15
	v_pk_mul_f32 v[16:17], v[24:25], v[34:35]
	v_div_scale_f32 v25, vcc_lo, v20, v27, v20
	s_delay_alu instid0(TRANS32_DEP_1) | instskip(NEXT) | instid1(VALU_DEP_3)
	v_fma_f32 v14, -v23, v30, 1.0
	v_pk_mul_f32 v[4:5], v[16:17], v[4:5]
	s_delay_alu instid0(VALU_DEP_2) | instskip(SKIP_2) | instid1(VALU_DEP_4)
	v_fmac_f32_e32 v30, v14, v30
	v_div_scale_f32 v24, null, v11, v11, v39
	v_div_scale_f32 v28, s0, v39, v11, v39
	v_div_scale_f32 v6, null, v27, v27, v5
	s_delay_alu instid0(VALU_DEP_3) | instskip(SKIP_2) | instid1(VALU_DEP_3)
	v_rcp_f32_e32 v31, v24
	v_pk_mul_f32 v[14:15], v[10:11], v[26:27]
	v_div_scale_f32 v16, null, v27, v27, v4
	v_rcp_f32_e32 v10, v6
	v_div_scale_f32 v35, s1, v5, v27, v5
	s_delay_alu instid0(TRANS32_DEP_2) | instskip(SKIP_2) | instid1(VALU_DEP_2)
	v_fma_f32 v12, -v24, v31, 1.0
	v_mul_f32_e32 v17, v25, v30
	v_rcp_f32_e32 v26, v16
	v_dual_mul_f32 v14, v21, v14 :: v_dual_fmac_f32 v31, v12, v31
	s_delay_alu instid0(VALU_DEP_2) | instskip(NEXT) | instid1(TRANS32_DEP_1)
	v_fma_f32 v12, -v23, v17, v25
	v_fma_f32 v21, -v16, v26, 1.0
	s_delay_alu instid0(VALU_DEP_3) | instskip(NEXT) | instid1(VALU_DEP_3)
	v_mul_f32_e32 v29, v28, v31
	v_fmac_f32_e32 v17, v12, v30
	v_fma_f32 v12, -v6, v10, 1.0
	s_delay_alu instid0(VALU_DEP_3) | instskip(NEXT) | instid1(VALU_DEP_1)
	v_fma_f32 v19, -v24, v29, v28
	v_dual_fmac_f32 v10, v12, v10 :: v_dual_fmac_f32 v29, v19, v31
	s_delay_alu instid0(VALU_DEP_4) | instskip(SKIP_1) | instid1(VALU_DEP_2)
	v_dual_mov_b32 v19, v13 :: v_dual_fma_f32 v25, -v23, v17, v25
	v_mov_b32_e32 v23, v34
	v_div_fmas_f32 v25, v25, v30, v17
	s_delay_alu instid0(VALU_DEP_2) | instskip(SKIP_2) | instid1(VALU_DEP_3)
	v_pk_mul_f32 v[12:13], v[22:23], v[32:33]
	v_div_scale_f32 v23, null, v15, v15, v14
	v_dual_fma_f32 v17, -v24, v29, v28 :: v_dual_mul_f32 v22, v35, v10
	v_pk_mul_f32 v[12:13], v[12:13], v[18:19]
	s_delay_alu instid0(VALU_DEP_3) | instskip(SKIP_4) | instid1(TRANS32_DEP_1)
	v_rcp_f32_e32 v19, v23
	s_mov_b32 vcc_lo, s0
	v_div_scale_f32 v18, s2, v4, v27, v4
	v_div_fmas_f32 v17, v17, v31, v29
	v_div_scale_f32 v31, null, v27, v27, v12
	v_fma_f32 v28, -v23, v19, 1.0
	v_fmac_f32_e32 v26, v21, v26
	v_div_scale_f32 v21, null, v11, v11, v13
	s_delay_alu instid0(VALU_DEP_4) | instskip(NEXT) | instid1(VALU_DEP_3)
	v_rcp_f32_e32 v33, v31
	v_fmac_f32_e32 v19, v28, v19
	v_div_scale_f32 v28, s0, v14, v15, v14
	s_delay_alu instid0(VALU_DEP_3) | instskip(SKIP_2) | instid1(VALU_DEP_2)
	v_rcp_f32_e32 v29, v21
	v_fma_f32 v24, -v6, v22, v35
	s_mov_b32 vcc_lo, s1
	v_mul_f32_e32 v34, v28, v19
	v_fma_f32 v40, -v31, v33, 1.0
	v_div_fixup_f32 v17, v17, v11, v39
	s_delay_alu instid0(TRANS32_DEP_1) | instskip(NEXT) | instid1(VALU_DEP_3)
	v_fma_f32 v32, -v21, v29, 1.0
	v_dual_mul_f32 v30, v18, v26 :: v_dual_fmac_f32 v33, v40, v33
	v_div_scale_f32 v40, s4, v12, v27, v12
	s_delay_alu instid0(VALU_DEP_3) | instskip(SKIP_3) | instid1(VALU_DEP_2)
	v_fmac_f32_e32 v29, v32, v29
	v_div_scale_f32 v32, s3, v13, v11, v13
	v_fmac_f32_e32 v22, v24, v10
	v_fma_f32 v24, -v16, v30, v18
	v_dual_fma_f32 v6, -v6, v22, v35 :: v_dual_mul_f32 v35, v32, v29
	s_delay_alu instid0(VALU_DEP_2) | instskip(SKIP_1) | instid1(VALU_DEP_3)
	v_fmac_f32_e32 v30, v24, v26
	v_fma_f32 v24, -v23, v34, v28
	v_div_fmas_f32 v10, v6, v10, v22
	s_mov_b32 vcc_lo, s2
	s_delay_alu instid0(VALU_DEP_3) | instskip(SKIP_3) | instid1(VALU_DEP_4)
	v_dual_fma_f32 v6, -v16, v30, v18 :: v_dual_fma_f32 v16, -v21, v35, v32
	v_mul_f32_e32 v18, v40, v33
	v_fmac_f32_e32 v34, v24, v19
	v_div_fixup_f32 v5, v10, v27, v5
	v_dual_fmac_f32 v35, v16, v29 :: v_dual_mov_b32 v16, v7
	v_div_fmas_f32 v22, v6, v26, v30
	s_delay_alu instid0(VALU_DEP_4) | instskip(SKIP_2) | instid1(VALU_DEP_3)
	v_fma_f32 v6, -v23, v34, v28
	v_fma_f32 v23, -v31, v18, v40
	s_mov_b32 vcc_lo, s0
	v_div_fixup_f32 v4, v22, v27, v4
	s_delay_alu instid0(VALU_DEP_3) | instskip(NEXT) | instid1(VALU_DEP_3)
	v_div_fmas_f32 v6, v6, v19, v34
	v_fmac_f32_e32 v18, v23, v33
	s_mov_b32 vcc_lo, s3
	s_delay_alu instid0(VALU_DEP_2) | instskip(NEXT) | instid1(VALU_DEP_2)
	v_div_fixup_f32 v6, v6, v15, v14
	v_fma_f32 v14, -v31, v18, v40
	v_fma_f32 v7, -v21, v35, v32
	s_delay_alu instid0(VALU_DEP_1) | instskip(SKIP_1) | instid1(VALU_DEP_3)
	v_div_fmas_f32 v7, v7, v29, v35
	s_mov_b32 vcc_lo, s4
	v_div_fmas_f32 v14, v14, v33, v18
	v_cmp_lt_f32_e32 vcc_lo, v9, v2
	s_delay_alu instid0(VALU_DEP_3) | instskip(NEXT) | instid1(VALU_DEP_3)
	v_div_fixup_f32 v11, v7, v11, v13
	v_div_fixup_f32 v10, v14, v27, v12
	v_cndmask_b32_e32 v9, v9, v2, vcc_lo
	v_cmp_lt_f32_e32 vcc_lo, v1, v8
	v_add_f32_e32 v15, v38, v6
	v_pk_add_f32 v[6:7], v[36:37], v[16:17]
	v_div_fixup_f32 v2, v25, v27, v20
	s_delay_alu instid0(VALU_DEP_3) | instskip(NEXT) | instid1(VALU_DEP_3)
	v_dual_cndmask_b32 v8, v8, v1 :: v_dual_add_f32 v11, v11, v15
	v_pk_add_f32 v[12:13], v[4:5], v[6:7]
	s_delay_alu instid0(VALU_DEP_2) | instskip(NEXT) | instid1(VALU_DEP_1)
	v_dual_add_f32 v3, v3, v2 :: v_dual_add_f32 v26, v10, v11
	v_mov_b64_e32 v[10:11], v[26:27]
.LBB27_123:
	s_or_b32 exec_lo, exec_lo, s5
	s_wait_dscnt 0x3
	s_delay_alu instid0(VALU_DEP_2)
	v_mov_b32_e32 v14, v3
.LBB27_124:
	s_or_b32 exec_lo, exec_lo, s6
.LBB27_125:
	s_delay_alu instid0(SALU_CYCLE_1)
	s_mov_b32 s5, exec_lo
                                        ; implicit-def: $vgpr3
                                        ; implicit-def: $vgpr15
                                        ; implicit-def: $vgpr4_vgpr5
	v_cmpx_eq_u32_e32 0, v0
	s_cbranch_execz .LBB27_129
; %bb.126:
	s_wait_dscnt 0x0
	v_mov_b64_e32 v[4:5], s[16:17]
	v_dual_mov_b32 v3, s15 :: v_dual_mov_b32 v2, s14
	v_dual_mov_b32 v1, s13 :: v_dual_mov_b32 v15, s12
	v_mov_b32_e32 v6, s18
	s_cmp_eq_u64 s[8:9], 0
	s_cbranch_scc1 .LBB27_128
; %bb.127:
	v_mov_b64_e32 v[2:3], s[16:17]
	v_dual_mov_b32 v0, s12 :: v_dual_mov_b32 v1, s16
	v_dual_mov_b32 v4, v12 :: v_dual_mov_b32 v5, v11
	v_mul_f32_e32 v6, s12, v12
	v_pk_mul_f32 v[20:21], v[10:11], v[10:11]
	v_pk_add_f32 v[16:17], v[2:3], v[12:13]
	v_mov_b32_e32 v16, s16
	v_cmp_gt_f32_e64 s0, s13, v8
	v_pk_fma_f32 v[4:5], v[0:1], v[4:5], v[6:7] op_sel_hi:[1,1,0] neg_lo:[1,0,0] neg_hi:[1,0,0]
	v_dual_mov_b32 v1, v11 :: v_dual_subrev_f32 v7, s15, v14
	v_dual_mov_b32 v14, v21 :: v_dual_mov_b32 v15, s12
	v_add_f32_e32 v30, s18, v10
	s_delay_alu instid0(VALU_DEP_3) | instskip(NEXT) | instid1(VALU_DEP_4)
	v_pk_mul_f32 v[18:19], s[12:13], v[0:1] op_sel_hi:[0,1]
	v_dual_mul_f32 v6, v7, v7 :: v_dual_mul_f32 v27, 0x40400000, v7
	v_dual_mov_b32 v10, v21 :: v_dual_mov_b32 v26, v11
	s_delay_alu instid0(VALU_DEP_3) | instskip(NEXT) | instid1(VALU_DEP_3)
	v_mov_b32_e32 v4, v19
	v_mul_f32_e32 v19, v7, v6
	s_delay_alu instid0(VALU_DEP_3) | instskip(NEXT) | instid1(VALU_DEP_3)
	v_pk_mul_f32 v[2:3], v[2:3], v[10:11]
	v_pk_fma_f32 v[22:23], s[12:13], v[0:1], v[4:5] op_sel_hi:[0,1,1] neg_lo:[0,0,1] neg_hi:[0,0,1]
	v_dual_sub_f32 v1, s12, v11 :: v_dual_mov_b32 v23, v11
	s_delay_alu instid0(VALU_DEP_4) | instskip(NEXT) | instid1(VALU_DEP_2)
	v_dual_mul_f32 v4, s12, v19 :: v_dual_mul_f32 v19, v7, v19
	v_pk_add_f32 v[14:15], v[14:15], v[22:23]
	s_delay_alu instid0(VALU_DEP_2) | instskip(SKIP_1) | instid1(VALU_DEP_3)
	v_dual_mov_b32 v22, v11 :: v_dual_mul_f32 v4, v11, v4
	v_mul_f32_e32 v28, v7, v11
	v_dual_mul_f32 v24, s12, v19 :: v_dual_mov_b32 v23, v15
	s_delay_alu instid0(VALU_DEP_3) | instskip(NEXT) | instid1(VALU_DEP_3)
	v_dual_mov_b32 v25, v15 :: v_dual_mul_f32 v31, v1, v4
	v_div_scale_f32 v29, null, v15, v15, v28
	s_delay_alu instid0(VALU_DEP_2) | instskip(SKIP_1) | instid1(VALU_DEP_3)
	v_pk_mul_f32 v[22:23], v[22:23], v[24:25]
	v_div_scale_f32 v25, vcc_lo, v28, v15, v28
	v_rcp_f32_e32 v32, v29
	s_delay_alu instid0(VALU_DEP_2) | instskip(NEXT) | instid1(TRANS32_DEP_1)
	v_div_scale_f32 v24, null, v23, v23, v31
	v_fma_f32 v1, -v29, v32, 1.0
	s_delay_alu instid0(VALU_DEP_2) | instskip(NEXT) | instid1(VALU_DEP_1)
	v_rcp_f32_e32 v33, v24
	v_dual_mul_f32 v4, s12, v6 :: v_dual_fmac_f32 v32, v1, v32
	v_cndmask_b32_e64 v1, s13, v8, s0
	v_mov_b32_e32 v19, s12
	s_delay_alu instid0(TRANS32_DEP_1) | instskip(NEXT) | instid1(VALU_DEP_4)
	v_fma_f32 v8, -v24, v33, 1.0
	v_pk_mul_f32 v[4:5], v[26:27], v[4:5]
	v_mul_f32_e32 v0, v25, v32
	v_div_scale_f32 v27, s0, v31, v23, v31
	s_delay_alu instid0(VALU_DEP_4) | instskip(NEXT) | instid1(VALU_DEP_4)
	v_fmac_f32_e32 v33, v8, v33
	v_div_scale_f32 v26, null, v15, v15, v5
	s_delay_alu instid0(VALU_DEP_4) | instskip(SKIP_1) | instid1(VALU_DEP_4)
	v_fma_f32 v10, -v29, v0, v25
	v_pk_fma_f32 v[20:21], v[18:19], v[12:13], v[2:3] neg_lo:[0,0,1] neg_hi:[0,0,1]
	v_mul_f32_e32 v35, v27, v33
	s_delay_alu instid0(VALU_DEP_4)
	v_rcp_f32_e32 v34, v26
	v_pk_fma_f32 v[2:3], v[18:19], v[12:13], v[2:3]
	v_fmac_f32_e32 v0, v10, v32
	v_mov_b64_e32 v[10:11], 0x4080000040c00000
	v_div_scale_f32 v8, null, v15, v15, v4
	v_mov_b32_e32 v3, v21
	s_delay_alu instid0(VALU_DEP_4) | instskip(SKIP_3) | instid1(VALU_DEP_3)
	v_dual_fma_f32 v25, -v29, v0, v25 :: v_dual_fma_f32 v29, -v24, v35, v27
	v_fma_f32 v36, -v26, v34, 1.0
	v_pk_mul_f32 v[6:7], v[6:7], v[10:11]
	v_rcp_f32_e32 v20, v8
	v_fmac_f32_e32 v35, v29, v33
	v_div_fmas_f32 v0, v25, v32, v0
	v_div_scale_f32 v29, s1, v5, v15, v5
	v_fmac_f32_e32 v34, v36, v34
	s_delay_alu instid0(VALU_DEP_4)
	v_fma_f32 v27, -v24, v35, v27
	v_pk_mul_f32 v[24:25], v[14:15], v[22:23]
	v_pk_mul_f32 v[2:3], v[6:7], v[2:3]
	s_mov_b32 vcc_lo, s0
	v_mul_f32_e32 v10, v29, v34
	v_div_fmas_f32 v13, v27, v33, v35
	v_div_scale_f32 v11, null, v25, v25, v24
	v_div_scale_f32 v14, null, v23, v23, v2
	;; [unrolled: 1-line block ×3, first 2 shown]
	s_delay_alu instid0(VALU_DEP_3)
	v_rcp_f32_e32 v7, v11
	v_div_fixup_f32 v0, v0, v15, v28
	v_fma_f32 v28, -v8, v20, 1.0
	v_rcp_f32_e32 v21, v14
	v_rcp_f32_e32 v32, v27
	v_div_scale_f32 v6, s2, v4, v15, v4
	s_delay_alu instid0(VALU_DEP_2) | instskip(SKIP_1) | instid1(TRANS32_DEP_2)
	v_dual_fmac_f32 v20, v28, v20 :: v_dual_fma_f32 v18, -v26, v10, v29
	v_fma_f32 v19, -v11, v7, 1.0
	v_fma_f32 v28, -v14, v21, 1.0
	s_delay_alu instid0(TRANS32_DEP_1) | instskip(NEXT) | instid1(VALU_DEP_4)
	v_fma_f32 v35, -v27, v32, 1.0
	v_mul_f32_e32 v22, v6, v20
	s_mov_b32 vcc_lo, s1
	v_fmac_f32_e32 v7, v19, v7
	v_div_scale_f32 v19, s0, v24, v25, v24
	v_fmac_f32_e32 v10, v18, v34
	v_dual_fma_f32 v18, -v8, v22, v6 :: v_dual_fmac_f32 v32, v35, v32
	s_delay_alu instid0(VALU_DEP_3) | instskip(SKIP_1) | instid1(VALU_DEP_4)
	v_dual_mul_f32 v33, v19, v7 :: v_dual_fmac_f32 v21, v28, v21
	v_div_scale_f32 v28, s3, v2, v23, v2
	v_fma_f32 v26, -v26, v10, v29
	s_delay_alu instid0(VALU_DEP_3) | instskip(NEXT) | instid1(VALU_DEP_3)
	v_dual_fmac_f32 v22, v18, v20 :: v_dual_fma_f32 v18, -v11, v33, v19
	v_mul_f32_e32 v29, v28, v21
	v_div_scale_f32 v35, s4, v3, v15, v3
	s_delay_alu instid0(VALU_DEP_4) | instskip(NEXT) | instid1(VALU_DEP_4)
	v_div_fmas_f32 v10, v26, v34, v10
	v_dual_fmac_f32 v33, v18, v7 :: v_dual_fma_f32 v6, -v8, v22, v6
	s_delay_alu instid0(VALU_DEP_3) | instskip(SKIP_2) | instid1(VALU_DEP_3)
	v_dual_fma_f32 v8, -v14, v29, v28 :: v_dual_mul_f32 v18, v35, v32
	s_mov_b32 vcc_lo, s2
	v_div_fixup_f32 v13, v13, v23, v31
	v_div_fmas_f32 v20, v6, v20, v22
	s_delay_alu instid0(VALU_DEP_3)
	v_fmac_f32_e32 v29, v8, v21
	v_fma_f32 v6, -v11, v33, v19
	v_fma_f32 v11, -v27, v18, v35
	s_mov_b32 vcc_lo, s0
	v_div_fixup_f32 v5, v10, v15, v5
	v_div_fixup_f32 v4, v20, v15, v4
	s_delay_alu instid0(VALU_DEP_3) | instskip(SKIP_3) | instid1(VALU_DEP_2)
	v_fmac_f32_e32 v18, v11, v32
	v_div_fmas_f32 v6, v6, v7, v33
	v_fma_f32 v7, -v14, v29, v28
	s_mov_b32 vcc_lo, s3
	v_div_fixup_f32 v6, v6, v25, v24
	s_delay_alu instid0(VALU_DEP_2) | instskip(SKIP_1) | instid1(VALU_DEP_2)
	v_div_fmas_f32 v7, v7, v21, v29
	s_mov_b32 vcc_lo, s4
	v_add_f32_e32 v11, v30, v6
	s_delay_alu instid0(VALU_DEP_2) | instskip(SKIP_2) | instid1(VALU_DEP_3)
	v_div_fixup_f32 v2, v7, v23, v2
	v_fma_f32 v8, -v27, v18, v35
	v_pk_add_f32 v[6:7], v[16:17], v[12:13]
	v_add_f32_e32 v10, v2, v11
	s_delay_alu instid0(VALU_DEP_3) | instskip(SKIP_1) | instid1(VALU_DEP_4)
	v_div_fmas_f32 v8, v8, v32, v18
	v_cmp_lt_f32_e32 vcc_lo, s14, v9
	v_pk_add_f32 v[4:5], v[6:7], v[4:5]
	s_delay_alu instid0(VALU_DEP_3) | instskip(SKIP_1) | instid1(VALU_DEP_2)
	v_div_fixup_f32 v8, v8, v15, v3
	v_cndmask_b32_e32 v2, s14, v9, vcc_lo
	v_dual_add_f32 v3, s15, v0 :: v_dual_add_f32 v6, v8, v10
.LBB27_128:
	s_or_b32 s28, s28, exec_lo
.LBB27_129:
	s_or_b32 exec_lo, exec_lo, s5
	s_and_saveexec_b32 s0, s28
	s_cbranch_execz .LBB27_100
.LBB27_130:
	s_wait_dscnt 0x2
	v_dual_mov_b32 v7, 0 :: v_dual_mov_b32 v0, v15
	s_mul_u64 s[0:1], s[20:21], 28
	s_delay_alu instid0(SALU_CYCLE_1)
	s_add_nc_u64 s[0:1], s[10:11], s[0:1]
	s_wait_dscnt 0x0
	s_clause 0x1
	global_store_b128 v7, v[0:3], s[0:1]
	global_store_b96 v7, v[4:6], s[0:1] offset:16
	s_endpgm
.LBB27_131:
	v_sub_f32_e32 v4, v3, v7
	v_mov_b32_e32 v10, 0x40400000
	v_mov_b64_e32 v[8:9], 0x40c0000040800000
	v_mov_b64_e32 v[14:15], 0x3e8000003f000000
	v_cmp_lt_f32_e64 s1, v3, v7
	v_mul_f32_e32 v11, v4, v4
	s_delay_alu instid0(VALU_DEP_1) | instskip(SKIP_1) | instid1(VALU_DEP_2)
	v_pk_mul_f32 v[12:13], v[4:5], v[10:11] op_sel_hi:[0,1]
	v_mov_b32_e32 v5, v11
	v_pk_mul_f32 v[16:17], v[12:13], 0 op_sel_hi:[1,0]
	s_delay_alu instid0(VALU_DEP_2) | instskip(SKIP_1) | instid1(VALU_DEP_3)
	v_pk_mul_f32 v[8:9], v[4:5], v[8:9]
	v_dual_mov_b32 v5, 0 :: v_dual_mul_f32 v6, v4, v13
	v_pk_mul_f32 v[16:17], v[16:17], v[14:15]
	s_delay_alu instid0(VALU_DEP_3) | instskip(NEXT) | instid1(VALU_DEP_2)
	v_pk_mul_f32 v[8:9], v[8:9], 0 op_sel_hi:[1,0]
	v_dual_fmamk_f32 v5, v6, 0x3e000000, v5 :: v_dual_add_f32 v6, 0, v17
	s_delay_alu instid0(VALU_DEP_2) | instskip(SKIP_2) | instid1(VALU_DEP_4)
	v_pk_mul_f32 v[14:15], v[8:9], v[14:15]
	v_cndmask_b32_e64 v8, v7, v3, s1
	v_cmp_lt_f32_e64 s1, v7, v3
	v_dual_mul_f32 v12, 0.5, v11 :: v_dual_add_f32 v13, v16, v6
	s_delay_alu instid0(VALU_DEP_4) | instskip(NEXT) | instid1(VALU_DEP_3)
	v_dual_add_f32 v5, v15, v5 :: v_dual_mov_b32 v11, 2.0
	v_dual_cndmask_b32 v9, v7, v3, s1 :: v_dual_fmac_f32 v7, 0.5, v4
	s_delay_alu instid0(VALU_DEP_2)
	v_add_f32_e32 v10, v14, v5
	s_or_b32 exec_lo, exec_lo, s2
	s_and_saveexec_b32 s6, vcc_lo
	s_cbranch_execz .LBB27_31
.LBB27_132:
	s_delay_alu instid0(VALU_DEP_1) | instskip(SKIP_2) | instid1(VALU_DEP_3)
	v_pk_fma_f32 v[4:5], v[10:11], v[10:11], v[10:11] neg_lo:[0,0,1] neg_hi:[0,0,1]
	v_dual_sub_f32 v4, v2, v7 :: v_dual_mov_b32 v15, v11
	v_dual_mov_b32 v20, v12 :: v_dual_mov_b32 v21, v11
	v_dual_mov_b32 v14, v5 :: v_dual_mov_b32 v16, v11
	s_delay_alu instid0(VALU_DEP_3) | instskip(SKIP_1) | instid1(VALU_DEP_3)
	v_dual_mul_f32 v26, v4, v4 :: v_dual_mov_b32 v3, -1.0
	v_mov_b32_e32 v6, 0
	v_pk_add_f32 v[14:15], v[14:15], 1.0 op_sel_hi:[1,0]
	v_dual_mov_b32 v18, 0x40400000 :: v_dual_mov_b32 v19, v11
	s_delay_alu instid0(VALU_DEP_4) | instskip(SKIP_1) | instid1(VALU_DEP_4)
	v_mul_f32_e32 v27, v26, v11
	v_pk_add_f32 v[22:23], v[10:11], v[2:3]
	v_div_scale_f32 v24, null, v15, v15, v4
	v_mul_f32_e32 v5, v4, v26
	s_delay_alu instid0(VALU_DEP_4) | instskip(NEXT) | instid1(VALU_DEP_3)
	v_div_scale_f32 v28, null, v15, v15, v27
	v_rcp_f32_e32 v3, v24
	v_pk_add_f32 v[20:21], v[20:21], v[6:7] neg_lo:[1,0] neg_hi:[1,0]
	v_mov_b32_e32 v21, v23
	s_delay_alu instid0(VALU_DEP_3) | instskip(SKIP_2) | instid1(TRANS32_DEP_2)
	v_rcp_f32_e32 v6, v28
	v_pk_mul_f32 v[18:19], v[18:19], v[4:5]
	v_dual_mul_f32 v22, v4, v5 :: v_dual_mov_b32 v17, v15
	v_fma_f32 v25, -v24, v3, 1.0
	v_mov_b32_e32 v23, v15
	v_div_scale_f32 v5, vcc_lo, v4, v15, v4
	v_pk_mul_f32 v[18:19], v[20:21], v[18:19]
	s_delay_alu instid0(VALU_DEP_4) | instskip(SKIP_2) | instid1(VALU_DEP_4)
	v_fmac_f32_e32 v3, v25, v3
	v_fma_f32 v20, -v28, v6, 1.0
	v_div_scale_f32 v29, s1, v27, v15, v27
	v_div_scale_f32 v31, null, v15, v15, v18
	s_delay_alu instid0(VALU_DEP_3) | instskip(SKIP_1) | instid1(VALU_DEP_3)
	v_dual_mul_f32 v30, v5, v3 :: v_dual_fmac_f32 v6, v20, v6
	v_mul_f32_e32 v11, v11, v11
	v_rcp_f32_e32 v32, v31
	v_pk_mul_f32 v[16:17], v[16:17], v[22:23]
	s_delay_alu instid0(VALU_DEP_3) | instskip(SKIP_2) | instid1(VALU_DEP_4)
	v_fma_f32 v21, -v24, v30, v5
	v_dual_mul_f32 v33, v29, v6 :: v_dual_sub_f32 v20, 0, v13
	v_add_f32_e32 v10, 0, v10
	v_pk_mul_f32 v[22:23], v[16:17], v[14:15]
	s_delay_alu instid0(VALU_DEP_4) | instskip(NEXT) | instid1(VALU_DEP_4)
	v_fmac_f32_e32 v30, v21, v3
	v_dual_fma_f32 v21, 0, v11, v12 :: v_dual_fma_f32 v11, -v28, v33, v29
	v_fma_f32 v14, -v31, v32, 1.0
	v_div_scale_f32 v34, null, v17, v17, v19
	s_delay_alu instid0(VALU_DEP_4) | instskip(SKIP_1) | instid1(VALU_DEP_4)
	v_fma_f32 v16, -v24, v30, v5
	v_mov_b64_e32 v[24:25], 0x40c0000040800000
	v_dual_fmac_f32 v33, v11, v6 :: v_dual_fmac_f32 v32, v14, v32
	v_mov_b32_e32 v5, v26
	v_rcp_f32_e32 v14, v34
	v_div_fmas_f32 v3, v16, v3, v30
	s_delay_alu instid0(VALU_DEP_3) | instskip(SKIP_3) | instid1(TRANS32_DEP_1)
	v_fma_f32 v16, -v28, v33, v29
	v_div_scale_f32 v11, s2, v18, v15, v18
	v_pk_mul_f32 v[24:25], v[4:5], v[24:25]
	v_div_scale_f32 v28, null, v23, v23, v22
	v_fma_f32 v26, -v34, v14, 1.0
	s_delay_alu instid0(VALU_DEP_4) | instskip(NEXT) | instid1(VALU_DEP_4)
	v_mul_f32_e32 v5, v11, v32
	v_pk_mul_f32 v[20:21], v[24:25], v[20:21]
	s_delay_alu instid0(VALU_DEP_4) | instskip(SKIP_2) | instid1(VALU_DEP_3)
	v_rcp_f32_e32 v25, v28
	v_div_scale_f32 v24, s3, v19, v17, v19
	v_fmac_f32_e32 v14, v26, v14
	v_div_scale_f32 v26, null, v15, v15, v20
	s_mov_b32 vcc_lo, s1
	s_delay_alu instid0(TRANS32_DEP_1) | instskip(SKIP_4) | instid1(VALU_DEP_3)
	v_fma_f32 v29, -v28, v25, 1.0
	v_div_scale_f32 v35, null, v17, v17, v21
	v_rcp_f32_e32 v30, v26
	v_div_fmas_f32 v6, v16, v6, v33
	v_dual_fma_f32 v16, -v31, v5, v11 :: v_dual_mul_f32 v33, v24, v14
	v_rcp_f32_e32 v37, v35
	s_mov_b32 vcc_lo, s2
	v_div_fixup_f32 v3, v3, v15, v4
	s_delay_alu instid0(TRANS32_DEP_2) | instskip(SKIP_3) | instid1(VALU_DEP_2)
	v_fma_f32 v36, -v26, v30, 1.0
	v_fmac_f32_e32 v25, v29, v25
	v_div_scale_f32 v29, s1, v22, v23, v22
	v_dual_fmac_f32 v5, v16, v32 :: v_dual_fma_f32 v16, -v34, v33, v24
	v_dual_fmac_f32 v30, v36, v30 :: v_dual_mul_f32 v38, v29, v25
	v_div_scale_f32 v36, s4, v20, v15, v20
	v_fma_f32 v39, -v35, v37, 1.0
	s_delay_alu instid0(VALU_DEP_4) | instskip(NEXT) | instid1(VALU_DEP_4)
	v_dual_fma_f32 v11, -v31, v5, v11 :: v_dual_fmac_f32 v33, v16, v14
	v_fma_f32 v16, -v28, v38, v29
	s_delay_alu instid0(VALU_DEP_3) | instskip(NEXT) | instid1(VALU_DEP_3)
	v_dual_mul_f32 v31, v36, v30 :: v_dual_fmac_f32 v37, v39, v37
	v_div_fmas_f32 v5, v11, v32, v5
	v_div_scale_f32 v39, s5, v21, v17, v21
	s_delay_alu instid0(VALU_DEP_3) | instskip(SKIP_2) | instid1(VALU_DEP_3)
	v_dual_fmac_f32 v38, v16, v25 :: v_dual_fma_f32 v16, -v26, v31, v36
	v_fma_f32 v11, -v34, v33, v24
	s_mov_b32 vcc_lo, s3
	v_mul_f32_e32 v24, v39, v37
	v_div_fixup_f32 v18, v5, v15, v18
	v_fmac_f32_e32 v31, v16, v30
	v_div_fmas_f32 v11, v11, v14, v33
	v_fma_f32 v14, -v28, v38, v29
	s_mov_b32 vcc_lo, s1
	v_fma_f32 v28, -v35, v24, v39
	v_div_fixup_f32 v4, v6, v15, v27
	v_div_fixup_f32 v5, v11, v17, v19
	v_div_fmas_f32 v14, v14, v25, v38
	s_mov_b32 vcc_lo, s4
	s_delay_alu instid0(VALU_DEP_2) | instskip(NEXT) | instid1(VALU_DEP_2)
	v_dual_add_f32 v7, v7, v3 :: v_dual_add_f32 v5, v13, v5
	v_div_fixup_f32 v14, v14, v23, v22
	s_delay_alu instid0(VALU_DEP_1) | instskip(NEXT) | instid1(VALU_DEP_1)
	v_dual_fmac_f32 v24, v28, v37 :: v_dual_add_f32 v10, v10, v14
	v_dual_fma_f32 v16, -v26, v31, v36 :: v_dual_fma_f32 v22, -v35, v24, v39
	s_delay_alu instid0(VALU_DEP_1) | instskip(SKIP_1) | instid1(VALU_DEP_2)
	v_div_fmas_f32 v16, v16, v30, v31
	s_mov_b32 vcc_lo, s5
	v_div_fmas_f32 v22, v22, v37, v24
	v_cmp_lt_f32_e32 vcc_lo, v2, v8
	s_delay_alu instid0(VALU_DEP_3) | instskip(NEXT) | instid1(VALU_DEP_3)
	v_div_fixup_f32 v11, v16, v15, v20
	v_div_fixup_f32 v14, v22, v17, v21
	v_cndmask_b32_e32 v8, v8, v2, vcc_lo
	v_cmp_lt_f32_e32 vcc_lo, v9, v2
	s_delay_alu instid0(VALU_DEP_3) | instskip(SKIP_1) | instid1(VALU_DEP_2)
	v_add_f32_e32 v10, v14, v10
	v_dual_mov_b32 v13, v18 :: v_dual_cndmask_b32 v9, v9, v2, vcc_lo
	v_add_f32_e32 v14, v11, v10
	s_delay_alu instid0(VALU_DEP_2) | instskip(NEXT) | instid1(VALU_DEP_2)
	v_pk_add_f32 v[12:13], v[12:13], v[4:5]
	v_mov_b64_e32 v[10:11], v[14:15]
	s_or_b32 exec_lo, exec_lo, s6
	s_and_saveexec_b32 s5, s0
	s_cbranch_execnz .LBB27_32
	s_branch .LBB27_33
	.section	.rodata,"a",@progbits
	.p2align	6, 0x0
	.amdhsa_kernel _ZN7rocprim17ROCPRIM_400000_NS6detail17trampoline_kernelINS0_14default_configENS1_22reduce_config_selectorI18summary_stats_dataIfEEEZNS1_11reduce_implILb1ES3_N6thrust23THRUST_200600_302600_NS11hip_rocprim26transform_input_iterator_tIS6_NSA_6detail15normal_iteratorINSA_10device_ptrIfEEEE22summary_stats_unary_opIfEEEPS6_S6_23summary_stats_binary_opIfEEE10hipError_tPvRmT1_T2_T3_mT4_P12ihipStream_tbEUlT_E1_NS1_11comp_targetILNS1_3genE0ELNS1_11target_archE4294967295ELNS1_3gpuE0ELNS1_3repE0EEENS1_30default_config_static_selectorELNS0_4arch9wavefront6targetE0EEEvSR_
		.amdhsa_group_segment_fixed_size 896
		.amdhsa_private_segment_fixed_size 0
		.amdhsa_kernarg_size 72
		.amdhsa_user_sgpr_count 2
		.amdhsa_user_sgpr_dispatch_ptr 0
		.amdhsa_user_sgpr_queue_ptr 0
		.amdhsa_user_sgpr_kernarg_segment_ptr 1
		.amdhsa_user_sgpr_dispatch_id 0
		.amdhsa_user_sgpr_kernarg_preload_length 0
		.amdhsa_user_sgpr_kernarg_preload_offset 0
		.amdhsa_user_sgpr_private_segment_size 0
		.amdhsa_wavefront_size32 1
		.amdhsa_uses_dynamic_stack 0
		.amdhsa_enable_private_segment 0
		.amdhsa_system_sgpr_workgroup_id_x 1
		.amdhsa_system_sgpr_workgroup_id_y 0
		.amdhsa_system_sgpr_workgroup_id_z 0
		.amdhsa_system_sgpr_workgroup_info 0
		.amdhsa_system_vgpr_workitem_id 0
		.amdhsa_next_free_vgpr 58
		.amdhsa_next_free_sgpr 29
		.amdhsa_named_barrier_count 0
		.amdhsa_reserve_vcc 1
		.amdhsa_float_round_mode_32 0
		.amdhsa_float_round_mode_16_64 0
		.amdhsa_float_denorm_mode_32 3
		.amdhsa_float_denorm_mode_16_64 3
		.amdhsa_fp16_overflow 0
		.amdhsa_memory_ordered 1
		.amdhsa_forward_progress 1
		.amdhsa_inst_pref_size 255
		.amdhsa_round_robin_scheduling 0
		.amdhsa_exception_fp_ieee_invalid_op 0
		.amdhsa_exception_fp_denorm_src 0
		.amdhsa_exception_fp_ieee_div_zero 0
		.amdhsa_exception_fp_ieee_overflow 0
		.amdhsa_exception_fp_ieee_underflow 0
		.amdhsa_exception_fp_ieee_inexact 0
		.amdhsa_exception_int_div_zero 0
	.end_amdhsa_kernel
	.section	.text._ZN7rocprim17ROCPRIM_400000_NS6detail17trampoline_kernelINS0_14default_configENS1_22reduce_config_selectorI18summary_stats_dataIfEEEZNS1_11reduce_implILb1ES3_N6thrust23THRUST_200600_302600_NS11hip_rocprim26transform_input_iterator_tIS6_NSA_6detail15normal_iteratorINSA_10device_ptrIfEEEE22summary_stats_unary_opIfEEEPS6_S6_23summary_stats_binary_opIfEEE10hipError_tPvRmT1_T2_T3_mT4_P12ihipStream_tbEUlT_E1_NS1_11comp_targetILNS1_3genE0ELNS1_11target_archE4294967295ELNS1_3gpuE0ELNS1_3repE0EEENS1_30default_config_static_selectorELNS0_4arch9wavefront6targetE0EEEvSR_,"axG",@progbits,_ZN7rocprim17ROCPRIM_400000_NS6detail17trampoline_kernelINS0_14default_configENS1_22reduce_config_selectorI18summary_stats_dataIfEEEZNS1_11reduce_implILb1ES3_N6thrust23THRUST_200600_302600_NS11hip_rocprim26transform_input_iterator_tIS6_NSA_6detail15normal_iteratorINSA_10device_ptrIfEEEE22summary_stats_unary_opIfEEEPS6_S6_23summary_stats_binary_opIfEEE10hipError_tPvRmT1_T2_T3_mT4_P12ihipStream_tbEUlT_E1_NS1_11comp_targetILNS1_3genE0ELNS1_11target_archE4294967295ELNS1_3gpuE0ELNS1_3repE0EEENS1_30default_config_static_selectorELNS0_4arch9wavefront6targetE0EEEvSR_,comdat
.Lfunc_end27:
	.size	_ZN7rocprim17ROCPRIM_400000_NS6detail17trampoline_kernelINS0_14default_configENS1_22reduce_config_selectorI18summary_stats_dataIfEEEZNS1_11reduce_implILb1ES3_N6thrust23THRUST_200600_302600_NS11hip_rocprim26transform_input_iterator_tIS6_NSA_6detail15normal_iteratorINSA_10device_ptrIfEEEE22summary_stats_unary_opIfEEEPS6_S6_23summary_stats_binary_opIfEEE10hipError_tPvRmT1_T2_T3_mT4_P12ihipStream_tbEUlT_E1_NS1_11comp_targetILNS1_3genE0ELNS1_11target_archE4294967295ELNS1_3gpuE0ELNS1_3repE0EEENS1_30default_config_static_selectorELNS0_4arch9wavefront6targetE0EEEvSR_, .Lfunc_end27-_ZN7rocprim17ROCPRIM_400000_NS6detail17trampoline_kernelINS0_14default_configENS1_22reduce_config_selectorI18summary_stats_dataIfEEEZNS1_11reduce_implILb1ES3_N6thrust23THRUST_200600_302600_NS11hip_rocprim26transform_input_iterator_tIS6_NSA_6detail15normal_iteratorINSA_10device_ptrIfEEEE22summary_stats_unary_opIfEEEPS6_S6_23summary_stats_binary_opIfEEE10hipError_tPvRmT1_T2_T3_mT4_P12ihipStream_tbEUlT_E1_NS1_11comp_targetILNS1_3genE0ELNS1_11target_archE4294967295ELNS1_3gpuE0ELNS1_3repE0EEENS1_30default_config_static_selectorELNS0_4arch9wavefront6targetE0EEEvSR_
                                        ; -- End function
	.set _ZN7rocprim17ROCPRIM_400000_NS6detail17trampoline_kernelINS0_14default_configENS1_22reduce_config_selectorI18summary_stats_dataIfEEEZNS1_11reduce_implILb1ES3_N6thrust23THRUST_200600_302600_NS11hip_rocprim26transform_input_iterator_tIS6_NSA_6detail15normal_iteratorINSA_10device_ptrIfEEEE22summary_stats_unary_opIfEEEPS6_S6_23summary_stats_binary_opIfEEE10hipError_tPvRmT1_T2_T3_mT4_P12ihipStream_tbEUlT_E1_NS1_11comp_targetILNS1_3genE0ELNS1_11target_archE4294967295ELNS1_3gpuE0ELNS1_3repE0EEENS1_30default_config_static_selectorELNS0_4arch9wavefront6targetE0EEEvSR_.num_vgpr, 58
	.set _ZN7rocprim17ROCPRIM_400000_NS6detail17trampoline_kernelINS0_14default_configENS1_22reduce_config_selectorI18summary_stats_dataIfEEEZNS1_11reduce_implILb1ES3_N6thrust23THRUST_200600_302600_NS11hip_rocprim26transform_input_iterator_tIS6_NSA_6detail15normal_iteratorINSA_10device_ptrIfEEEE22summary_stats_unary_opIfEEEPS6_S6_23summary_stats_binary_opIfEEE10hipError_tPvRmT1_T2_T3_mT4_P12ihipStream_tbEUlT_E1_NS1_11comp_targetILNS1_3genE0ELNS1_11target_archE4294967295ELNS1_3gpuE0ELNS1_3repE0EEENS1_30default_config_static_selectorELNS0_4arch9wavefront6targetE0EEEvSR_.num_agpr, 0
	.set _ZN7rocprim17ROCPRIM_400000_NS6detail17trampoline_kernelINS0_14default_configENS1_22reduce_config_selectorI18summary_stats_dataIfEEEZNS1_11reduce_implILb1ES3_N6thrust23THRUST_200600_302600_NS11hip_rocprim26transform_input_iterator_tIS6_NSA_6detail15normal_iteratorINSA_10device_ptrIfEEEE22summary_stats_unary_opIfEEEPS6_S6_23summary_stats_binary_opIfEEE10hipError_tPvRmT1_T2_T3_mT4_P12ihipStream_tbEUlT_E1_NS1_11comp_targetILNS1_3genE0ELNS1_11target_archE4294967295ELNS1_3gpuE0ELNS1_3repE0EEENS1_30default_config_static_selectorELNS0_4arch9wavefront6targetE0EEEvSR_.numbered_sgpr, 29
	.set _ZN7rocprim17ROCPRIM_400000_NS6detail17trampoline_kernelINS0_14default_configENS1_22reduce_config_selectorI18summary_stats_dataIfEEEZNS1_11reduce_implILb1ES3_N6thrust23THRUST_200600_302600_NS11hip_rocprim26transform_input_iterator_tIS6_NSA_6detail15normal_iteratorINSA_10device_ptrIfEEEE22summary_stats_unary_opIfEEEPS6_S6_23summary_stats_binary_opIfEEE10hipError_tPvRmT1_T2_T3_mT4_P12ihipStream_tbEUlT_E1_NS1_11comp_targetILNS1_3genE0ELNS1_11target_archE4294967295ELNS1_3gpuE0ELNS1_3repE0EEENS1_30default_config_static_selectorELNS0_4arch9wavefront6targetE0EEEvSR_.num_named_barrier, 0
	.set _ZN7rocprim17ROCPRIM_400000_NS6detail17trampoline_kernelINS0_14default_configENS1_22reduce_config_selectorI18summary_stats_dataIfEEEZNS1_11reduce_implILb1ES3_N6thrust23THRUST_200600_302600_NS11hip_rocprim26transform_input_iterator_tIS6_NSA_6detail15normal_iteratorINSA_10device_ptrIfEEEE22summary_stats_unary_opIfEEEPS6_S6_23summary_stats_binary_opIfEEE10hipError_tPvRmT1_T2_T3_mT4_P12ihipStream_tbEUlT_E1_NS1_11comp_targetILNS1_3genE0ELNS1_11target_archE4294967295ELNS1_3gpuE0ELNS1_3repE0EEENS1_30default_config_static_selectorELNS0_4arch9wavefront6targetE0EEEvSR_.private_seg_size, 0
	.set _ZN7rocprim17ROCPRIM_400000_NS6detail17trampoline_kernelINS0_14default_configENS1_22reduce_config_selectorI18summary_stats_dataIfEEEZNS1_11reduce_implILb1ES3_N6thrust23THRUST_200600_302600_NS11hip_rocprim26transform_input_iterator_tIS6_NSA_6detail15normal_iteratorINSA_10device_ptrIfEEEE22summary_stats_unary_opIfEEEPS6_S6_23summary_stats_binary_opIfEEE10hipError_tPvRmT1_T2_T3_mT4_P12ihipStream_tbEUlT_E1_NS1_11comp_targetILNS1_3genE0ELNS1_11target_archE4294967295ELNS1_3gpuE0ELNS1_3repE0EEENS1_30default_config_static_selectorELNS0_4arch9wavefront6targetE0EEEvSR_.uses_vcc, 1
	.set _ZN7rocprim17ROCPRIM_400000_NS6detail17trampoline_kernelINS0_14default_configENS1_22reduce_config_selectorI18summary_stats_dataIfEEEZNS1_11reduce_implILb1ES3_N6thrust23THRUST_200600_302600_NS11hip_rocprim26transform_input_iterator_tIS6_NSA_6detail15normal_iteratorINSA_10device_ptrIfEEEE22summary_stats_unary_opIfEEEPS6_S6_23summary_stats_binary_opIfEEE10hipError_tPvRmT1_T2_T3_mT4_P12ihipStream_tbEUlT_E1_NS1_11comp_targetILNS1_3genE0ELNS1_11target_archE4294967295ELNS1_3gpuE0ELNS1_3repE0EEENS1_30default_config_static_selectorELNS0_4arch9wavefront6targetE0EEEvSR_.uses_flat_scratch, 0
	.set _ZN7rocprim17ROCPRIM_400000_NS6detail17trampoline_kernelINS0_14default_configENS1_22reduce_config_selectorI18summary_stats_dataIfEEEZNS1_11reduce_implILb1ES3_N6thrust23THRUST_200600_302600_NS11hip_rocprim26transform_input_iterator_tIS6_NSA_6detail15normal_iteratorINSA_10device_ptrIfEEEE22summary_stats_unary_opIfEEEPS6_S6_23summary_stats_binary_opIfEEE10hipError_tPvRmT1_T2_T3_mT4_P12ihipStream_tbEUlT_E1_NS1_11comp_targetILNS1_3genE0ELNS1_11target_archE4294967295ELNS1_3gpuE0ELNS1_3repE0EEENS1_30default_config_static_selectorELNS0_4arch9wavefront6targetE0EEEvSR_.has_dyn_sized_stack, 0
	.set _ZN7rocprim17ROCPRIM_400000_NS6detail17trampoline_kernelINS0_14default_configENS1_22reduce_config_selectorI18summary_stats_dataIfEEEZNS1_11reduce_implILb1ES3_N6thrust23THRUST_200600_302600_NS11hip_rocprim26transform_input_iterator_tIS6_NSA_6detail15normal_iteratorINSA_10device_ptrIfEEEE22summary_stats_unary_opIfEEEPS6_S6_23summary_stats_binary_opIfEEE10hipError_tPvRmT1_T2_T3_mT4_P12ihipStream_tbEUlT_E1_NS1_11comp_targetILNS1_3genE0ELNS1_11target_archE4294967295ELNS1_3gpuE0ELNS1_3repE0EEENS1_30default_config_static_selectorELNS0_4arch9wavefront6targetE0EEEvSR_.has_recursion, 0
	.set _ZN7rocprim17ROCPRIM_400000_NS6detail17trampoline_kernelINS0_14default_configENS1_22reduce_config_selectorI18summary_stats_dataIfEEEZNS1_11reduce_implILb1ES3_N6thrust23THRUST_200600_302600_NS11hip_rocprim26transform_input_iterator_tIS6_NSA_6detail15normal_iteratorINSA_10device_ptrIfEEEE22summary_stats_unary_opIfEEEPS6_S6_23summary_stats_binary_opIfEEE10hipError_tPvRmT1_T2_T3_mT4_P12ihipStream_tbEUlT_E1_NS1_11comp_targetILNS1_3genE0ELNS1_11target_archE4294967295ELNS1_3gpuE0ELNS1_3repE0EEENS1_30default_config_static_selectorELNS0_4arch9wavefront6targetE0EEEvSR_.has_indirect_call, 0
	.section	.AMDGPU.csdata,"",@progbits
; Kernel info:
; codeLenInByte = 58412
; TotalNumSgprs: 31
; NumVgprs: 58
; ScratchSize: 0
; MemoryBound: 0
; FloatMode: 240
; IeeeMode: 1
; LDSByteSize: 896 bytes/workgroup (compile time only)
; SGPRBlocks: 0
; VGPRBlocks: 3
; NumSGPRsForWavesPerEU: 31
; NumVGPRsForWavesPerEU: 58
; NamedBarCnt: 0
; Occupancy: 16
; WaveLimiterHint : 1
; COMPUTE_PGM_RSRC2:SCRATCH_EN: 0
; COMPUTE_PGM_RSRC2:USER_SGPR: 2
; COMPUTE_PGM_RSRC2:TRAP_HANDLER: 0
; COMPUTE_PGM_RSRC2:TGID_X_EN: 1
; COMPUTE_PGM_RSRC2:TGID_Y_EN: 0
; COMPUTE_PGM_RSRC2:TGID_Z_EN: 0
; COMPUTE_PGM_RSRC2:TIDIG_COMP_CNT: 0
	.section	.text._ZN7rocprim17ROCPRIM_400000_NS6detail17trampoline_kernelINS0_14default_configENS1_22reduce_config_selectorI18summary_stats_dataIfEEEZNS1_11reduce_implILb1ES3_N6thrust23THRUST_200600_302600_NS11hip_rocprim26transform_input_iterator_tIS6_NSA_6detail15normal_iteratorINSA_10device_ptrIfEEEE22summary_stats_unary_opIfEEEPS6_S6_23summary_stats_binary_opIfEEE10hipError_tPvRmT1_T2_T3_mT4_P12ihipStream_tbEUlT_E1_NS1_11comp_targetILNS1_3genE5ELNS1_11target_archE942ELNS1_3gpuE9ELNS1_3repE0EEENS1_30default_config_static_selectorELNS0_4arch9wavefront6targetE0EEEvSR_,"axG",@progbits,_ZN7rocprim17ROCPRIM_400000_NS6detail17trampoline_kernelINS0_14default_configENS1_22reduce_config_selectorI18summary_stats_dataIfEEEZNS1_11reduce_implILb1ES3_N6thrust23THRUST_200600_302600_NS11hip_rocprim26transform_input_iterator_tIS6_NSA_6detail15normal_iteratorINSA_10device_ptrIfEEEE22summary_stats_unary_opIfEEEPS6_S6_23summary_stats_binary_opIfEEE10hipError_tPvRmT1_T2_T3_mT4_P12ihipStream_tbEUlT_E1_NS1_11comp_targetILNS1_3genE5ELNS1_11target_archE942ELNS1_3gpuE9ELNS1_3repE0EEENS1_30default_config_static_selectorELNS0_4arch9wavefront6targetE0EEEvSR_,comdat
	.protected	_ZN7rocprim17ROCPRIM_400000_NS6detail17trampoline_kernelINS0_14default_configENS1_22reduce_config_selectorI18summary_stats_dataIfEEEZNS1_11reduce_implILb1ES3_N6thrust23THRUST_200600_302600_NS11hip_rocprim26transform_input_iterator_tIS6_NSA_6detail15normal_iteratorINSA_10device_ptrIfEEEE22summary_stats_unary_opIfEEEPS6_S6_23summary_stats_binary_opIfEEE10hipError_tPvRmT1_T2_T3_mT4_P12ihipStream_tbEUlT_E1_NS1_11comp_targetILNS1_3genE5ELNS1_11target_archE942ELNS1_3gpuE9ELNS1_3repE0EEENS1_30default_config_static_selectorELNS0_4arch9wavefront6targetE0EEEvSR_ ; -- Begin function _ZN7rocprim17ROCPRIM_400000_NS6detail17trampoline_kernelINS0_14default_configENS1_22reduce_config_selectorI18summary_stats_dataIfEEEZNS1_11reduce_implILb1ES3_N6thrust23THRUST_200600_302600_NS11hip_rocprim26transform_input_iterator_tIS6_NSA_6detail15normal_iteratorINSA_10device_ptrIfEEEE22summary_stats_unary_opIfEEEPS6_S6_23summary_stats_binary_opIfEEE10hipError_tPvRmT1_T2_T3_mT4_P12ihipStream_tbEUlT_E1_NS1_11comp_targetILNS1_3genE5ELNS1_11target_archE942ELNS1_3gpuE9ELNS1_3repE0EEENS1_30default_config_static_selectorELNS0_4arch9wavefront6targetE0EEEvSR_
	.globl	_ZN7rocprim17ROCPRIM_400000_NS6detail17trampoline_kernelINS0_14default_configENS1_22reduce_config_selectorI18summary_stats_dataIfEEEZNS1_11reduce_implILb1ES3_N6thrust23THRUST_200600_302600_NS11hip_rocprim26transform_input_iterator_tIS6_NSA_6detail15normal_iteratorINSA_10device_ptrIfEEEE22summary_stats_unary_opIfEEEPS6_S6_23summary_stats_binary_opIfEEE10hipError_tPvRmT1_T2_T3_mT4_P12ihipStream_tbEUlT_E1_NS1_11comp_targetILNS1_3genE5ELNS1_11target_archE942ELNS1_3gpuE9ELNS1_3repE0EEENS1_30default_config_static_selectorELNS0_4arch9wavefront6targetE0EEEvSR_
	.p2align	8
	.type	_ZN7rocprim17ROCPRIM_400000_NS6detail17trampoline_kernelINS0_14default_configENS1_22reduce_config_selectorI18summary_stats_dataIfEEEZNS1_11reduce_implILb1ES3_N6thrust23THRUST_200600_302600_NS11hip_rocprim26transform_input_iterator_tIS6_NSA_6detail15normal_iteratorINSA_10device_ptrIfEEEE22summary_stats_unary_opIfEEEPS6_S6_23summary_stats_binary_opIfEEE10hipError_tPvRmT1_T2_T3_mT4_P12ihipStream_tbEUlT_E1_NS1_11comp_targetILNS1_3genE5ELNS1_11target_archE942ELNS1_3gpuE9ELNS1_3repE0EEENS1_30default_config_static_selectorELNS0_4arch9wavefront6targetE0EEEvSR_,@function
_ZN7rocprim17ROCPRIM_400000_NS6detail17trampoline_kernelINS0_14default_configENS1_22reduce_config_selectorI18summary_stats_dataIfEEEZNS1_11reduce_implILb1ES3_N6thrust23THRUST_200600_302600_NS11hip_rocprim26transform_input_iterator_tIS6_NSA_6detail15normal_iteratorINSA_10device_ptrIfEEEE22summary_stats_unary_opIfEEEPS6_S6_23summary_stats_binary_opIfEEE10hipError_tPvRmT1_T2_T3_mT4_P12ihipStream_tbEUlT_E1_NS1_11comp_targetILNS1_3genE5ELNS1_11target_archE942ELNS1_3gpuE9ELNS1_3repE0EEENS1_30default_config_static_selectorELNS0_4arch9wavefront6targetE0EEEvSR_: ; @_ZN7rocprim17ROCPRIM_400000_NS6detail17trampoline_kernelINS0_14default_configENS1_22reduce_config_selectorI18summary_stats_dataIfEEEZNS1_11reduce_implILb1ES3_N6thrust23THRUST_200600_302600_NS11hip_rocprim26transform_input_iterator_tIS6_NSA_6detail15normal_iteratorINSA_10device_ptrIfEEEE22summary_stats_unary_opIfEEEPS6_S6_23summary_stats_binary_opIfEEE10hipError_tPvRmT1_T2_T3_mT4_P12ihipStream_tbEUlT_E1_NS1_11comp_targetILNS1_3genE5ELNS1_11target_archE942ELNS1_3gpuE9ELNS1_3repE0EEENS1_30default_config_static_selectorELNS0_4arch9wavefront6targetE0EEEvSR_
; %bb.0:
	.section	.rodata,"a",@progbits
	.p2align	6, 0x0
	.amdhsa_kernel _ZN7rocprim17ROCPRIM_400000_NS6detail17trampoline_kernelINS0_14default_configENS1_22reduce_config_selectorI18summary_stats_dataIfEEEZNS1_11reduce_implILb1ES3_N6thrust23THRUST_200600_302600_NS11hip_rocprim26transform_input_iterator_tIS6_NSA_6detail15normal_iteratorINSA_10device_ptrIfEEEE22summary_stats_unary_opIfEEEPS6_S6_23summary_stats_binary_opIfEEE10hipError_tPvRmT1_T2_T3_mT4_P12ihipStream_tbEUlT_E1_NS1_11comp_targetILNS1_3genE5ELNS1_11target_archE942ELNS1_3gpuE9ELNS1_3repE0EEENS1_30default_config_static_selectorELNS0_4arch9wavefront6targetE0EEEvSR_
		.amdhsa_group_segment_fixed_size 0
		.amdhsa_private_segment_fixed_size 0
		.amdhsa_kernarg_size 72
		.amdhsa_user_sgpr_count 2
		.amdhsa_user_sgpr_dispatch_ptr 0
		.amdhsa_user_sgpr_queue_ptr 0
		.amdhsa_user_sgpr_kernarg_segment_ptr 1
		.amdhsa_user_sgpr_dispatch_id 0
		.amdhsa_user_sgpr_kernarg_preload_length 0
		.amdhsa_user_sgpr_kernarg_preload_offset 0
		.amdhsa_user_sgpr_private_segment_size 0
		.amdhsa_wavefront_size32 1
		.amdhsa_uses_dynamic_stack 0
		.amdhsa_enable_private_segment 0
		.amdhsa_system_sgpr_workgroup_id_x 1
		.amdhsa_system_sgpr_workgroup_id_y 0
		.amdhsa_system_sgpr_workgroup_id_z 0
		.amdhsa_system_sgpr_workgroup_info 0
		.amdhsa_system_vgpr_workitem_id 0
		.amdhsa_next_free_vgpr 1
		.amdhsa_next_free_sgpr 1
		.amdhsa_named_barrier_count 0
		.amdhsa_reserve_vcc 0
		.amdhsa_float_round_mode_32 0
		.amdhsa_float_round_mode_16_64 0
		.amdhsa_float_denorm_mode_32 3
		.amdhsa_float_denorm_mode_16_64 3
		.amdhsa_fp16_overflow 0
		.amdhsa_memory_ordered 1
		.amdhsa_forward_progress 1
		.amdhsa_inst_pref_size 0
		.amdhsa_round_robin_scheduling 0
		.amdhsa_exception_fp_ieee_invalid_op 0
		.amdhsa_exception_fp_denorm_src 0
		.amdhsa_exception_fp_ieee_div_zero 0
		.amdhsa_exception_fp_ieee_overflow 0
		.amdhsa_exception_fp_ieee_underflow 0
		.amdhsa_exception_fp_ieee_inexact 0
		.amdhsa_exception_int_div_zero 0
	.end_amdhsa_kernel
	.section	.text._ZN7rocprim17ROCPRIM_400000_NS6detail17trampoline_kernelINS0_14default_configENS1_22reduce_config_selectorI18summary_stats_dataIfEEEZNS1_11reduce_implILb1ES3_N6thrust23THRUST_200600_302600_NS11hip_rocprim26transform_input_iterator_tIS6_NSA_6detail15normal_iteratorINSA_10device_ptrIfEEEE22summary_stats_unary_opIfEEEPS6_S6_23summary_stats_binary_opIfEEE10hipError_tPvRmT1_T2_T3_mT4_P12ihipStream_tbEUlT_E1_NS1_11comp_targetILNS1_3genE5ELNS1_11target_archE942ELNS1_3gpuE9ELNS1_3repE0EEENS1_30default_config_static_selectorELNS0_4arch9wavefront6targetE0EEEvSR_,"axG",@progbits,_ZN7rocprim17ROCPRIM_400000_NS6detail17trampoline_kernelINS0_14default_configENS1_22reduce_config_selectorI18summary_stats_dataIfEEEZNS1_11reduce_implILb1ES3_N6thrust23THRUST_200600_302600_NS11hip_rocprim26transform_input_iterator_tIS6_NSA_6detail15normal_iteratorINSA_10device_ptrIfEEEE22summary_stats_unary_opIfEEEPS6_S6_23summary_stats_binary_opIfEEE10hipError_tPvRmT1_T2_T3_mT4_P12ihipStream_tbEUlT_E1_NS1_11comp_targetILNS1_3genE5ELNS1_11target_archE942ELNS1_3gpuE9ELNS1_3repE0EEENS1_30default_config_static_selectorELNS0_4arch9wavefront6targetE0EEEvSR_,comdat
.Lfunc_end28:
	.size	_ZN7rocprim17ROCPRIM_400000_NS6detail17trampoline_kernelINS0_14default_configENS1_22reduce_config_selectorI18summary_stats_dataIfEEEZNS1_11reduce_implILb1ES3_N6thrust23THRUST_200600_302600_NS11hip_rocprim26transform_input_iterator_tIS6_NSA_6detail15normal_iteratorINSA_10device_ptrIfEEEE22summary_stats_unary_opIfEEEPS6_S6_23summary_stats_binary_opIfEEE10hipError_tPvRmT1_T2_T3_mT4_P12ihipStream_tbEUlT_E1_NS1_11comp_targetILNS1_3genE5ELNS1_11target_archE942ELNS1_3gpuE9ELNS1_3repE0EEENS1_30default_config_static_selectorELNS0_4arch9wavefront6targetE0EEEvSR_, .Lfunc_end28-_ZN7rocprim17ROCPRIM_400000_NS6detail17trampoline_kernelINS0_14default_configENS1_22reduce_config_selectorI18summary_stats_dataIfEEEZNS1_11reduce_implILb1ES3_N6thrust23THRUST_200600_302600_NS11hip_rocprim26transform_input_iterator_tIS6_NSA_6detail15normal_iteratorINSA_10device_ptrIfEEEE22summary_stats_unary_opIfEEEPS6_S6_23summary_stats_binary_opIfEEE10hipError_tPvRmT1_T2_T3_mT4_P12ihipStream_tbEUlT_E1_NS1_11comp_targetILNS1_3genE5ELNS1_11target_archE942ELNS1_3gpuE9ELNS1_3repE0EEENS1_30default_config_static_selectorELNS0_4arch9wavefront6targetE0EEEvSR_
                                        ; -- End function
	.set _ZN7rocprim17ROCPRIM_400000_NS6detail17trampoline_kernelINS0_14default_configENS1_22reduce_config_selectorI18summary_stats_dataIfEEEZNS1_11reduce_implILb1ES3_N6thrust23THRUST_200600_302600_NS11hip_rocprim26transform_input_iterator_tIS6_NSA_6detail15normal_iteratorINSA_10device_ptrIfEEEE22summary_stats_unary_opIfEEEPS6_S6_23summary_stats_binary_opIfEEE10hipError_tPvRmT1_T2_T3_mT4_P12ihipStream_tbEUlT_E1_NS1_11comp_targetILNS1_3genE5ELNS1_11target_archE942ELNS1_3gpuE9ELNS1_3repE0EEENS1_30default_config_static_selectorELNS0_4arch9wavefront6targetE0EEEvSR_.num_vgpr, 0
	.set _ZN7rocprim17ROCPRIM_400000_NS6detail17trampoline_kernelINS0_14default_configENS1_22reduce_config_selectorI18summary_stats_dataIfEEEZNS1_11reduce_implILb1ES3_N6thrust23THRUST_200600_302600_NS11hip_rocprim26transform_input_iterator_tIS6_NSA_6detail15normal_iteratorINSA_10device_ptrIfEEEE22summary_stats_unary_opIfEEEPS6_S6_23summary_stats_binary_opIfEEE10hipError_tPvRmT1_T2_T3_mT4_P12ihipStream_tbEUlT_E1_NS1_11comp_targetILNS1_3genE5ELNS1_11target_archE942ELNS1_3gpuE9ELNS1_3repE0EEENS1_30default_config_static_selectorELNS0_4arch9wavefront6targetE0EEEvSR_.num_agpr, 0
	.set _ZN7rocprim17ROCPRIM_400000_NS6detail17trampoline_kernelINS0_14default_configENS1_22reduce_config_selectorI18summary_stats_dataIfEEEZNS1_11reduce_implILb1ES3_N6thrust23THRUST_200600_302600_NS11hip_rocprim26transform_input_iterator_tIS6_NSA_6detail15normal_iteratorINSA_10device_ptrIfEEEE22summary_stats_unary_opIfEEEPS6_S6_23summary_stats_binary_opIfEEE10hipError_tPvRmT1_T2_T3_mT4_P12ihipStream_tbEUlT_E1_NS1_11comp_targetILNS1_3genE5ELNS1_11target_archE942ELNS1_3gpuE9ELNS1_3repE0EEENS1_30default_config_static_selectorELNS0_4arch9wavefront6targetE0EEEvSR_.numbered_sgpr, 0
	.set _ZN7rocprim17ROCPRIM_400000_NS6detail17trampoline_kernelINS0_14default_configENS1_22reduce_config_selectorI18summary_stats_dataIfEEEZNS1_11reduce_implILb1ES3_N6thrust23THRUST_200600_302600_NS11hip_rocprim26transform_input_iterator_tIS6_NSA_6detail15normal_iteratorINSA_10device_ptrIfEEEE22summary_stats_unary_opIfEEEPS6_S6_23summary_stats_binary_opIfEEE10hipError_tPvRmT1_T2_T3_mT4_P12ihipStream_tbEUlT_E1_NS1_11comp_targetILNS1_3genE5ELNS1_11target_archE942ELNS1_3gpuE9ELNS1_3repE0EEENS1_30default_config_static_selectorELNS0_4arch9wavefront6targetE0EEEvSR_.num_named_barrier, 0
	.set _ZN7rocprim17ROCPRIM_400000_NS6detail17trampoline_kernelINS0_14default_configENS1_22reduce_config_selectorI18summary_stats_dataIfEEEZNS1_11reduce_implILb1ES3_N6thrust23THRUST_200600_302600_NS11hip_rocprim26transform_input_iterator_tIS6_NSA_6detail15normal_iteratorINSA_10device_ptrIfEEEE22summary_stats_unary_opIfEEEPS6_S6_23summary_stats_binary_opIfEEE10hipError_tPvRmT1_T2_T3_mT4_P12ihipStream_tbEUlT_E1_NS1_11comp_targetILNS1_3genE5ELNS1_11target_archE942ELNS1_3gpuE9ELNS1_3repE0EEENS1_30default_config_static_selectorELNS0_4arch9wavefront6targetE0EEEvSR_.private_seg_size, 0
	.set _ZN7rocprim17ROCPRIM_400000_NS6detail17trampoline_kernelINS0_14default_configENS1_22reduce_config_selectorI18summary_stats_dataIfEEEZNS1_11reduce_implILb1ES3_N6thrust23THRUST_200600_302600_NS11hip_rocprim26transform_input_iterator_tIS6_NSA_6detail15normal_iteratorINSA_10device_ptrIfEEEE22summary_stats_unary_opIfEEEPS6_S6_23summary_stats_binary_opIfEEE10hipError_tPvRmT1_T2_T3_mT4_P12ihipStream_tbEUlT_E1_NS1_11comp_targetILNS1_3genE5ELNS1_11target_archE942ELNS1_3gpuE9ELNS1_3repE0EEENS1_30default_config_static_selectorELNS0_4arch9wavefront6targetE0EEEvSR_.uses_vcc, 0
	.set _ZN7rocprim17ROCPRIM_400000_NS6detail17trampoline_kernelINS0_14default_configENS1_22reduce_config_selectorI18summary_stats_dataIfEEEZNS1_11reduce_implILb1ES3_N6thrust23THRUST_200600_302600_NS11hip_rocprim26transform_input_iterator_tIS6_NSA_6detail15normal_iteratorINSA_10device_ptrIfEEEE22summary_stats_unary_opIfEEEPS6_S6_23summary_stats_binary_opIfEEE10hipError_tPvRmT1_T2_T3_mT4_P12ihipStream_tbEUlT_E1_NS1_11comp_targetILNS1_3genE5ELNS1_11target_archE942ELNS1_3gpuE9ELNS1_3repE0EEENS1_30default_config_static_selectorELNS0_4arch9wavefront6targetE0EEEvSR_.uses_flat_scratch, 0
	.set _ZN7rocprim17ROCPRIM_400000_NS6detail17trampoline_kernelINS0_14default_configENS1_22reduce_config_selectorI18summary_stats_dataIfEEEZNS1_11reduce_implILb1ES3_N6thrust23THRUST_200600_302600_NS11hip_rocprim26transform_input_iterator_tIS6_NSA_6detail15normal_iteratorINSA_10device_ptrIfEEEE22summary_stats_unary_opIfEEEPS6_S6_23summary_stats_binary_opIfEEE10hipError_tPvRmT1_T2_T3_mT4_P12ihipStream_tbEUlT_E1_NS1_11comp_targetILNS1_3genE5ELNS1_11target_archE942ELNS1_3gpuE9ELNS1_3repE0EEENS1_30default_config_static_selectorELNS0_4arch9wavefront6targetE0EEEvSR_.has_dyn_sized_stack, 0
	.set _ZN7rocprim17ROCPRIM_400000_NS6detail17trampoline_kernelINS0_14default_configENS1_22reduce_config_selectorI18summary_stats_dataIfEEEZNS1_11reduce_implILb1ES3_N6thrust23THRUST_200600_302600_NS11hip_rocprim26transform_input_iterator_tIS6_NSA_6detail15normal_iteratorINSA_10device_ptrIfEEEE22summary_stats_unary_opIfEEEPS6_S6_23summary_stats_binary_opIfEEE10hipError_tPvRmT1_T2_T3_mT4_P12ihipStream_tbEUlT_E1_NS1_11comp_targetILNS1_3genE5ELNS1_11target_archE942ELNS1_3gpuE9ELNS1_3repE0EEENS1_30default_config_static_selectorELNS0_4arch9wavefront6targetE0EEEvSR_.has_recursion, 0
	.set _ZN7rocprim17ROCPRIM_400000_NS6detail17trampoline_kernelINS0_14default_configENS1_22reduce_config_selectorI18summary_stats_dataIfEEEZNS1_11reduce_implILb1ES3_N6thrust23THRUST_200600_302600_NS11hip_rocprim26transform_input_iterator_tIS6_NSA_6detail15normal_iteratorINSA_10device_ptrIfEEEE22summary_stats_unary_opIfEEEPS6_S6_23summary_stats_binary_opIfEEE10hipError_tPvRmT1_T2_T3_mT4_P12ihipStream_tbEUlT_E1_NS1_11comp_targetILNS1_3genE5ELNS1_11target_archE942ELNS1_3gpuE9ELNS1_3repE0EEENS1_30default_config_static_selectorELNS0_4arch9wavefront6targetE0EEEvSR_.has_indirect_call, 0
	.section	.AMDGPU.csdata,"",@progbits
; Kernel info:
; codeLenInByte = 0
; TotalNumSgprs: 0
; NumVgprs: 0
; ScratchSize: 0
; MemoryBound: 0
; FloatMode: 240
; IeeeMode: 1
; LDSByteSize: 0 bytes/workgroup (compile time only)
; SGPRBlocks: 0
; VGPRBlocks: 0
; NumSGPRsForWavesPerEU: 1
; NumVGPRsForWavesPerEU: 1
; NamedBarCnt: 0
; Occupancy: 16
; WaveLimiterHint : 0
; COMPUTE_PGM_RSRC2:SCRATCH_EN: 0
; COMPUTE_PGM_RSRC2:USER_SGPR: 2
; COMPUTE_PGM_RSRC2:TRAP_HANDLER: 0
; COMPUTE_PGM_RSRC2:TGID_X_EN: 1
; COMPUTE_PGM_RSRC2:TGID_Y_EN: 0
; COMPUTE_PGM_RSRC2:TGID_Z_EN: 0
; COMPUTE_PGM_RSRC2:TIDIG_COMP_CNT: 0
	.section	.text._ZN7rocprim17ROCPRIM_400000_NS6detail17trampoline_kernelINS0_14default_configENS1_22reduce_config_selectorI18summary_stats_dataIfEEEZNS1_11reduce_implILb1ES3_N6thrust23THRUST_200600_302600_NS11hip_rocprim26transform_input_iterator_tIS6_NSA_6detail15normal_iteratorINSA_10device_ptrIfEEEE22summary_stats_unary_opIfEEEPS6_S6_23summary_stats_binary_opIfEEE10hipError_tPvRmT1_T2_T3_mT4_P12ihipStream_tbEUlT_E1_NS1_11comp_targetILNS1_3genE4ELNS1_11target_archE910ELNS1_3gpuE8ELNS1_3repE0EEENS1_30default_config_static_selectorELNS0_4arch9wavefront6targetE0EEEvSR_,"axG",@progbits,_ZN7rocprim17ROCPRIM_400000_NS6detail17trampoline_kernelINS0_14default_configENS1_22reduce_config_selectorI18summary_stats_dataIfEEEZNS1_11reduce_implILb1ES3_N6thrust23THRUST_200600_302600_NS11hip_rocprim26transform_input_iterator_tIS6_NSA_6detail15normal_iteratorINSA_10device_ptrIfEEEE22summary_stats_unary_opIfEEEPS6_S6_23summary_stats_binary_opIfEEE10hipError_tPvRmT1_T2_T3_mT4_P12ihipStream_tbEUlT_E1_NS1_11comp_targetILNS1_3genE4ELNS1_11target_archE910ELNS1_3gpuE8ELNS1_3repE0EEENS1_30default_config_static_selectorELNS0_4arch9wavefront6targetE0EEEvSR_,comdat
	.protected	_ZN7rocprim17ROCPRIM_400000_NS6detail17trampoline_kernelINS0_14default_configENS1_22reduce_config_selectorI18summary_stats_dataIfEEEZNS1_11reduce_implILb1ES3_N6thrust23THRUST_200600_302600_NS11hip_rocprim26transform_input_iterator_tIS6_NSA_6detail15normal_iteratorINSA_10device_ptrIfEEEE22summary_stats_unary_opIfEEEPS6_S6_23summary_stats_binary_opIfEEE10hipError_tPvRmT1_T2_T3_mT4_P12ihipStream_tbEUlT_E1_NS1_11comp_targetILNS1_3genE4ELNS1_11target_archE910ELNS1_3gpuE8ELNS1_3repE0EEENS1_30default_config_static_selectorELNS0_4arch9wavefront6targetE0EEEvSR_ ; -- Begin function _ZN7rocprim17ROCPRIM_400000_NS6detail17trampoline_kernelINS0_14default_configENS1_22reduce_config_selectorI18summary_stats_dataIfEEEZNS1_11reduce_implILb1ES3_N6thrust23THRUST_200600_302600_NS11hip_rocprim26transform_input_iterator_tIS6_NSA_6detail15normal_iteratorINSA_10device_ptrIfEEEE22summary_stats_unary_opIfEEEPS6_S6_23summary_stats_binary_opIfEEE10hipError_tPvRmT1_T2_T3_mT4_P12ihipStream_tbEUlT_E1_NS1_11comp_targetILNS1_3genE4ELNS1_11target_archE910ELNS1_3gpuE8ELNS1_3repE0EEENS1_30default_config_static_selectorELNS0_4arch9wavefront6targetE0EEEvSR_
	.globl	_ZN7rocprim17ROCPRIM_400000_NS6detail17trampoline_kernelINS0_14default_configENS1_22reduce_config_selectorI18summary_stats_dataIfEEEZNS1_11reduce_implILb1ES3_N6thrust23THRUST_200600_302600_NS11hip_rocprim26transform_input_iterator_tIS6_NSA_6detail15normal_iteratorINSA_10device_ptrIfEEEE22summary_stats_unary_opIfEEEPS6_S6_23summary_stats_binary_opIfEEE10hipError_tPvRmT1_T2_T3_mT4_P12ihipStream_tbEUlT_E1_NS1_11comp_targetILNS1_3genE4ELNS1_11target_archE910ELNS1_3gpuE8ELNS1_3repE0EEENS1_30default_config_static_selectorELNS0_4arch9wavefront6targetE0EEEvSR_
	.p2align	8
	.type	_ZN7rocprim17ROCPRIM_400000_NS6detail17trampoline_kernelINS0_14default_configENS1_22reduce_config_selectorI18summary_stats_dataIfEEEZNS1_11reduce_implILb1ES3_N6thrust23THRUST_200600_302600_NS11hip_rocprim26transform_input_iterator_tIS6_NSA_6detail15normal_iteratorINSA_10device_ptrIfEEEE22summary_stats_unary_opIfEEEPS6_S6_23summary_stats_binary_opIfEEE10hipError_tPvRmT1_T2_T3_mT4_P12ihipStream_tbEUlT_E1_NS1_11comp_targetILNS1_3genE4ELNS1_11target_archE910ELNS1_3gpuE8ELNS1_3repE0EEENS1_30default_config_static_selectorELNS0_4arch9wavefront6targetE0EEEvSR_,@function
_ZN7rocprim17ROCPRIM_400000_NS6detail17trampoline_kernelINS0_14default_configENS1_22reduce_config_selectorI18summary_stats_dataIfEEEZNS1_11reduce_implILb1ES3_N6thrust23THRUST_200600_302600_NS11hip_rocprim26transform_input_iterator_tIS6_NSA_6detail15normal_iteratorINSA_10device_ptrIfEEEE22summary_stats_unary_opIfEEEPS6_S6_23summary_stats_binary_opIfEEE10hipError_tPvRmT1_T2_T3_mT4_P12ihipStream_tbEUlT_E1_NS1_11comp_targetILNS1_3genE4ELNS1_11target_archE910ELNS1_3gpuE8ELNS1_3repE0EEENS1_30default_config_static_selectorELNS0_4arch9wavefront6targetE0EEEvSR_: ; @_ZN7rocprim17ROCPRIM_400000_NS6detail17trampoline_kernelINS0_14default_configENS1_22reduce_config_selectorI18summary_stats_dataIfEEEZNS1_11reduce_implILb1ES3_N6thrust23THRUST_200600_302600_NS11hip_rocprim26transform_input_iterator_tIS6_NSA_6detail15normal_iteratorINSA_10device_ptrIfEEEE22summary_stats_unary_opIfEEEPS6_S6_23summary_stats_binary_opIfEEE10hipError_tPvRmT1_T2_T3_mT4_P12ihipStream_tbEUlT_E1_NS1_11comp_targetILNS1_3genE4ELNS1_11target_archE910ELNS1_3gpuE8ELNS1_3repE0EEENS1_30default_config_static_selectorELNS0_4arch9wavefront6targetE0EEEvSR_
; %bb.0:
	.section	.rodata,"a",@progbits
	.p2align	6, 0x0
	.amdhsa_kernel _ZN7rocprim17ROCPRIM_400000_NS6detail17trampoline_kernelINS0_14default_configENS1_22reduce_config_selectorI18summary_stats_dataIfEEEZNS1_11reduce_implILb1ES3_N6thrust23THRUST_200600_302600_NS11hip_rocprim26transform_input_iterator_tIS6_NSA_6detail15normal_iteratorINSA_10device_ptrIfEEEE22summary_stats_unary_opIfEEEPS6_S6_23summary_stats_binary_opIfEEE10hipError_tPvRmT1_T2_T3_mT4_P12ihipStream_tbEUlT_E1_NS1_11comp_targetILNS1_3genE4ELNS1_11target_archE910ELNS1_3gpuE8ELNS1_3repE0EEENS1_30default_config_static_selectorELNS0_4arch9wavefront6targetE0EEEvSR_
		.amdhsa_group_segment_fixed_size 0
		.amdhsa_private_segment_fixed_size 0
		.amdhsa_kernarg_size 72
		.amdhsa_user_sgpr_count 2
		.amdhsa_user_sgpr_dispatch_ptr 0
		.amdhsa_user_sgpr_queue_ptr 0
		.amdhsa_user_sgpr_kernarg_segment_ptr 1
		.amdhsa_user_sgpr_dispatch_id 0
		.amdhsa_user_sgpr_kernarg_preload_length 0
		.amdhsa_user_sgpr_kernarg_preload_offset 0
		.amdhsa_user_sgpr_private_segment_size 0
		.amdhsa_wavefront_size32 1
		.amdhsa_uses_dynamic_stack 0
		.amdhsa_enable_private_segment 0
		.amdhsa_system_sgpr_workgroup_id_x 1
		.amdhsa_system_sgpr_workgroup_id_y 0
		.amdhsa_system_sgpr_workgroup_id_z 0
		.amdhsa_system_sgpr_workgroup_info 0
		.amdhsa_system_vgpr_workitem_id 0
		.amdhsa_next_free_vgpr 1
		.amdhsa_next_free_sgpr 1
		.amdhsa_named_barrier_count 0
		.amdhsa_reserve_vcc 0
		.amdhsa_float_round_mode_32 0
		.amdhsa_float_round_mode_16_64 0
		.amdhsa_float_denorm_mode_32 3
		.amdhsa_float_denorm_mode_16_64 3
		.amdhsa_fp16_overflow 0
		.amdhsa_memory_ordered 1
		.amdhsa_forward_progress 1
		.amdhsa_inst_pref_size 0
		.amdhsa_round_robin_scheduling 0
		.amdhsa_exception_fp_ieee_invalid_op 0
		.amdhsa_exception_fp_denorm_src 0
		.amdhsa_exception_fp_ieee_div_zero 0
		.amdhsa_exception_fp_ieee_overflow 0
		.amdhsa_exception_fp_ieee_underflow 0
		.amdhsa_exception_fp_ieee_inexact 0
		.amdhsa_exception_int_div_zero 0
	.end_amdhsa_kernel
	.section	.text._ZN7rocprim17ROCPRIM_400000_NS6detail17trampoline_kernelINS0_14default_configENS1_22reduce_config_selectorI18summary_stats_dataIfEEEZNS1_11reduce_implILb1ES3_N6thrust23THRUST_200600_302600_NS11hip_rocprim26transform_input_iterator_tIS6_NSA_6detail15normal_iteratorINSA_10device_ptrIfEEEE22summary_stats_unary_opIfEEEPS6_S6_23summary_stats_binary_opIfEEE10hipError_tPvRmT1_T2_T3_mT4_P12ihipStream_tbEUlT_E1_NS1_11comp_targetILNS1_3genE4ELNS1_11target_archE910ELNS1_3gpuE8ELNS1_3repE0EEENS1_30default_config_static_selectorELNS0_4arch9wavefront6targetE0EEEvSR_,"axG",@progbits,_ZN7rocprim17ROCPRIM_400000_NS6detail17trampoline_kernelINS0_14default_configENS1_22reduce_config_selectorI18summary_stats_dataIfEEEZNS1_11reduce_implILb1ES3_N6thrust23THRUST_200600_302600_NS11hip_rocprim26transform_input_iterator_tIS6_NSA_6detail15normal_iteratorINSA_10device_ptrIfEEEE22summary_stats_unary_opIfEEEPS6_S6_23summary_stats_binary_opIfEEE10hipError_tPvRmT1_T2_T3_mT4_P12ihipStream_tbEUlT_E1_NS1_11comp_targetILNS1_3genE4ELNS1_11target_archE910ELNS1_3gpuE8ELNS1_3repE0EEENS1_30default_config_static_selectorELNS0_4arch9wavefront6targetE0EEEvSR_,comdat
.Lfunc_end29:
	.size	_ZN7rocprim17ROCPRIM_400000_NS6detail17trampoline_kernelINS0_14default_configENS1_22reduce_config_selectorI18summary_stats_dataIfEEEZNS1_11reduce_implILb1ES3_N6thrust23THRUST_200600_302600_NS11hip_rocprim26transform_input_iterator_tIS6_NSA_6detail15normal_iteratorINSA_10device_ptrIfEEEE22summary_stats_unary_opIfEEEPS6_S6_23summary_stats_binary_opIfEEE10hipError_tPvRmT1_T2_T3_mT4_P12ihipStream_tbEUlT_E1_NS1_11comp_targetILNS1_3genE4ELNS1_11target_archE910ELNS1_3gpuE8ELNS1_3repE0EEENS1_30default_config_static_selectorELNS0_4arch9wavefront6targetE0EEEvSR_, .Lfunc_end29-_ZN7rocprim17ROCPRIM_400000_NS6detail17trampoline_kernelINS0_14default_configENS1_22reduce_config_selectorI18summary_stats_dataIfEEEZNS1_11reduce_implILb1ES3_N6thrust23THRUST_200600_302600_NS11hip_rocprim26transform_input_iterator_tIS6_NSA_6detail15normal_iteratorINSA_10device_ptrIfEEEE22summary_stats_unary_opIfEEEPS6_S6_23summary_stats_binary_opIfEEE10hipError_tPvRmT1_T2_T3_mT4_P12ihipStream_tbEUlT_E1_NS1_11comp_targetILNS1_3genE4ELNS1_11target_archE910ELNS1_3gpuE8ELNS1_3repE0EEENS1_30default_config_static_selectorELNS0_4arch9wavefront6targetE0EEEvSR_
                                        ; -- End function
	.set _ZN7rocprim17ROCPRIM_400000_NS6detail17trampoline_kernelINS0_14default_configENS1_22reduce_config_selectorI18summary_stats_dataIfEEEZNS1_11reduce_implILb1ES3_N6thrust23THRUST_200600_302600_NS11hip_rocprim26transform_input_iterator_tIS6_NSA_6detail15normal_iteratorINSA_10device_ptrIfEEEE22summary_stats_unary_opIfEEEPS6_S6_23summary_stats_binary_opIfEEE10hipError_tPvRmT1_T2_T3_mT4_P12ihipStream_tbEUlT_E1_NS1_11comp_targetILNS1_3genE4ELNS1_11target_archE910ELNS1_3gpuE8ELNS1_3repE0EEENS1_30default_config_static_selectorELNS0_4arch9wavefront6targetE0EEEvSR_.num_vgpr, 0
	.set _ZN7rocprim17ROCPRIM_400000_NS6detail17trampoline_kernelINS0_14default_configENS1_22reduce_config_selectorI18summary_stats_dataIfEEEZNS1_11reduce_implILb1ES3_N6thrust23THRUST_200600_302600_NS11hip_rocprim26transform_input_iterator_tIS6_NSA_6detail15normal_iteratorINSA_10device_ptrIfEEEE22summary_stats_unary_opIfEEEPS6_S6_23summary_stats_binary_opIfEEE10hipError_tPvRmT1_T2_T3_mT4_P12ihipStream_tbEUlT_E1_NS1_11comp_targetILNS1_3genE4ELNS1_11target_archE910ELNS1_3gpuE8ELNS1_3repE0EEENS1_30default_config_static_selectorELNS0_4arch9wavefront6targetE0EEEvSR_.num_agpr, 0
	.set _ZN7rocprim17ROCPRIM_400000_NS6detail17trampoline_kernelINS0_14default_configENS1_22reduce_config_selectorI18summary_stats_dataIfEEEZNS1_11reduce_implILb1ES3_N6thrust23THRUST_200600_302600_NS11hip_rocprim26transform_input_iterator_tIS6_NSA_6detail15normal_iteratorINSA_10device_ptrIfEEEE22summary_stats_unary_opIfEEEPS6_S6_23summary_stats_binary_opIfEEE10hipError_tPvRmT1_T2_T3_mT4_P12ihipStream_tbEUlT_E1_NS1_11comp_targetILNS1_3genE4ELNS1_11target_archE910ELNS1_3gpuE8ELNS1_3repE0EEENS1_30default_config_static_selectorELNS0_4arch9wavefront6targetE0EEEvSR_.numbered_sgpr, 0
	.set _ZN7rocprim17ROCPRIM_400000_NS6detail17trampoline_kernelINS0_14default_configENS1_22reduce_config_selectorI18summary_stats_dataIfEEEZNS1_11reduce_implILb1ES3_N6thrust23THRUST_200600_302600_NS11hip_rocprim26transform_input_iterator_tIS6_NSA_6detail15normal_iteratorINSA_10device_ptrIfEEEE22summary_stats_unary_opIfEEEPS6_S6_23summary_stats_binary_opIfEEE10hipError_tPvRmT1_T2_T3_mT4_P12ihipStream_tbEUlT_E1_NS1_11comp_targetILNS1_3genE4ELNS1_11target_archE910ELNS1_3gpuE8ELNS1_3repE0EEENS1_30default_config_static_selectorELNS0_4arch9wavefront6targetE0EEEvSR_.num_named_barrier, 0
	.set _ZN7rocprim17ROCPRIM_400000_NS6detail17trampoline_kernelINS0_14default_configENS1_22reduce_config_selectorI18summary_stats_dataIfEEEZNS1_11reduce_implILb1ES3_N6thrust23THRUST_200600_302600_NS11hip_rocprim26transform_input_iterator_tIS6_NSA_6detail15normal_iteratorINSA_10device_ptrIfEEEE22summary_stats_unary_opIfEEEPS6_S6_23summary_stats_binary_opIfEEE10hipError_tPvRmT1_T2_T3_mT4_P12ihipStream_tbEUlT_E1_NS1_11comp_targetILNS1_3genE4ELNS1_11target_archE910ELNS1_3gpuE8ELNS1_3repE0EEENS1_30default_config_static_selectorELNS0_4arch9wavefront6targetE0EEEvSR_.private_seg_size, 0
	.set _ZN7rocprim17ROCPRIM_400000_NS6detail17trampoline_kernelINS0_14default_configENS1_22reduce_config_selectorI18summary_stats_dataIfEEEZNS1_11reduce_implILb1ES3_N6thrust23THRUST_200600_302600_NS11hip_rocprim26transform_input_iterator_tIS6_NSA_6detail15normal_iteratorINSA_10device_ptrIfEEEE22summary_stats_unary_opIfEEEPS6_S6_23summary_stats_binary_opIfEEE10hipError_tPvRmT1_T2_T3_mT4_P12ihipStream_tbEUlT_E1_NS1_11comp_targetILNS1_3genE4ELNS1_11target_archE910ELNS1_3gpuE8ELNS1_3repE0EEENS1_30default_config_static_selectorELNS0_4arch9wavefront6targetE0EEEvSR_.uses_vcc, 0
	.set _ZN7rocprim17ROCPRIM_400000_NS6detail17trampoline_kernelINS0_14default_configENS1_22reduce_config_selectorI18summary_stats_dataIfEEEZNS1_11reduce_implILb1ES3_N6thrust23THRUST_200600_302600_NS11hip_rocprim26transform_input_iterator_tIS6_NSA_6detail15normal_iteratorINSA_10device_ptrIfEEEE22summary_stats_unary_opIfEEEPS6_S6_23summary_stats_binary_opIfEEE10hipError_tPvRmT1_T2_T3_mT4_P12ihipStream_tbEUlT_E1_NS1_11comp_targetILNS1_3genE4ELNS1_11target_archE910ELNS1_3gpuE8ELNS1_3repE0EEENS1_30default_config_static_selectorELNS0_4arch9wavefront6targetE0EEEvSR_.uses_flat_scratch, 0
	.set _ZN7rocprim17ROCPRIM_400000_NS6detail17trampoline_kernelINS0_14default_configENS1_22reduce_config_selectorI18summary_stats_dataIfEEEZNS1_11reduce_implILb1ES3_N6thrust23THRUST_200600_302600_NS11hip_rocprim26transform_input_iterator_tIS6_NSA_6detail15normal_iteratorINSA_10device_ptrIfEEEE22summary_stats_unary_opIfEEEPS6_S6_23summary_stats_binary_opIfEEE10hipError_tPvRmT1_T2_T3_mT4_P12ihipStream_tbEUlT_E1_NS1_11comp_targetILNS1_3genE4ELNS1_11target_archE910ELNS1_3gpuE8ELNS1_3repE0EEENS1_30default_config_static_selectorELNS0_4arch9wavefront6targetE0EEEvSR_.has_dyn_sized_stack, 0
	.set _ZN7rocprim17ROCPRIM_400000_NS6detail17trampoline_kernelINS0_14default_configENS1_22reduce_config_selectorI18summary_stats_dataIfEEEZNS1_11reduce_implILb1ES3_N6thrust23THRUST_200600_302600_NS11hip_rocprim26transform_input_iterator_tIS6_NSA_6detail15normal_iteratorINSA_10device_ptrIfEEEE22summary_stats_unary_opIfEEEPS6_S6_23summary_stats_binary_opIfEEE10hipError_tPvRmT1_T2_T3_mT4_P12ihipStream_tbEUlT_E1_NS1_11comp_targetILNS1_3genE4ELNS1_11target_archE910ELNS1_3gpuE8ELNS1_3repE0EEENS1_30default_config_static_selectorELNS0_4arch9wavefront6targetE0EEEvSR_.has_recursion, 0
	.set _ZN7rocprim17ROCPRIM_400000_NS6detail17trampoline_kernelINS0_14default_configENS1_22reduce_config_selectorI18summary_stats_dataIfEEEZNS1_11reduce_implILb1ES3_N6thrust23THRUST_200600_302600_NS11hip_rocprim26transform_input_iterator_tIS6_NSA_6detail15normal_iteratorINSA_10device_ptrIfEEEE22summary_stats_unary_opIfEEEPS6_S6_23summary_stats_binary_opIfEEE10hipError_tPvRmT1_T2_T3_mT4_P12ihipStream_tbEUlT_E1_NS1_11comp_targetILNS1_3genE4ELNS1_11target_archE910ELNS1_3gpuE8ELNS1_3repE0EEENS1_30default_config_static_selectorELNS0_4arch9wavefront6targetE0EEEvSR_.has_indirect_call, 0
	.section	.AMDGPU.csdata,"",@progbits
; Kernel info:
; codeLenInByte = 0
; TotalNumSgprs: 0
; NumVgprs: 0
; ScratchSize: 0
; MemoryBound: 0
; FloatMode: 240
; IeeeMode: 1
; LDSByteSize: 0 bytes/workgroup (compile time only)
; SGPRBlocks: 0
; VGPRBlocks: 0
; NumSGPRsForWavesPerEU: 1
; NumVGPRsForWavesPerEU: 1
; NamedBarCnt: 0
; Occupancy: 16
; WaveLimiterHint : 0
; COMPUTE_PGM_RSRC2:SCRATCH_EN: 0
; COMPUTE_PGM_RSRC2:USER_SGPR: 2
; COMPUTE_PGM_RSRC2:TRAP_HANDLER: 0
; COMPUTE_PGM_RSRC2:TGID_X_EN: 1
; COMPUTE_PGM_RSRC2:TGID_Y_EN: 0
; COMPUTE_PGM_RSRC2:TGID_Z_EN: 0
; COMPUTE_PGM_RSRC2:TIDIG_COMP_CNT: 0
	.section	.text._ZN7rocprim17ROCPRIM_400000_NS6detail17trampoline_kernelINS0_14default_configENS1_22reduce_config_selectorI18summary_stats_dataIfEEEZNS1_11reduce_implILb1ES3_N6thrust23THRUST_200600_302600_NS11hip_rocprim26transform_input_iterator_tIS6_NSA_6detail15normal_iteratorINSA_10device_ptrIfEEEE22summary_stats_unary_opIfEEEPS6_S6_23summary_stats_binary_opIfEEE10hipError_tPvRmT1_T2_T3_mT4_P12ihipStream_tbEUlT_E1_NS1_11comp_targetILNS1_3genE3ELNS1_11target_archE908ELNS1_3gpuE7ELNS1_3repE0EEENS1_30default_config_static_selectorELNS0_4arch9wavefront6targetE0EEEvSR_,"axG",@progbits,_ZN7rocprim17ROCPRIM_400000_NS6detail17trampoline_kernelINS0_14default_configENS1_22reduce_config_selectorI18summary_stats_dataIfEEEZNS1_11reduce_implILb1ES3_N6thrust23THRUST_200600_302600_NS11hip_rocprim26transform_input_iterator_tIS6_NSA_6detail15normal_iteratorINSA_10device_ptrIfEEEE22summary_stats_unary_opIfEEEPS6_S6_23summary_stats_binary_opIfEEE10hipError_tPvRmT1_T2_T3_mT4_P12ihipStream_tbEUlT_E1_NS1_11comp_targetILNS1_3genE3ELNS1_11target_archE908ELNS1_3gpuE7ELNS1_3repE0EEENS1_30default_config_static_selectorELNS0_4arch9wavefront6targetE0EEEvSR_,comdat
	.protected	_ZN7rocprim17ROCPRIM_400000_NS6detail17trampoline_kernelINS0_14default_configENS1_22reduce_config_selectorI18summary_stats_dataIfEEEZNS1_11reduce_implILb1ES3_N6thrust23THRUST_200600_302600_NS11hip_rocprim26transform_input_iterator_tIS6_NSA_6detail15normal_iteratorINSA_10device_ptrIfEEEE22summary_stats_unary_opIfEEEPS6_S6_23summary_stats_binary_opIfEEE10hipError_tPvRmT1_T2_T3_mT4_P12ihipStream_tbEUlT_E1_NS1_11comp_targetILNS1_3genE3ELNS1_11target_archE908ELNS1_3gpuE7ELNS1_3repE0EEENS1_30default_config_static_selectorELNS0_4arch9wavefront6targetE0EEEvSR_ ; -- Begin function _ZN7rocprim17ROCPRIM_400000_NS6detail17trampoline_kernelINS0_14default_configENS1_22reduce_config_selectorI18summary_stats_dataIfEEEZNS1_11reduce_implILb1ES3_N6thrust23THRUST_200600_302600_NS11hip_rocprim26transform_input_iterator_tIS6_NSA_6detail15normal_iteratorINSA_10device_ptrIfEEEE22summary_stats_unary_opIfEEEPS6_S6_23summary_stats_binary_opIfEEE10hipError_tPvRmT1_T2_T3_mT4_P12ihipStream_tbEUlT_E1_NS1_11comp_targetILNS1_3genE3ELNS1_11target_archE908ELNS1_3gpuE7ELNS1_3repE0EEENS1_30default_config_static_selectorELNS0_4arch9wavefront6targetE0EEEvSR_
	.globl	_ZN7rocprim17ROCPRIM_400000_NS6detail17trampoline_kernelINS0_14default_configENS1_22reduce_config_selectorI18summary_stats_dataIfEEEZNS1_11reduce_implILb1ES3_N6thrust23THRUST_200600_302600_NS11hip_rocprim26transform_input_iterator_tIS6_NSA_6detail15normal_iteratorINSA_10device_ptrIfEEEE22summary_stats_unary_opIfEEEPS6_S6_23summary_stats_binary_opIfEEE10hipError_tPvRmT1_T2_T3_mT4_P12ihipStream_tbEUlT_E1_NS1_11comp_targetILNS1_3genE3ELNS1_11target_archE908ELNS1_3gpuE7ELNS1_3repE0EEENS1_30default_config_static_selectorELNS0_4arch9wavefront6targetE0EEEvSR_
	.p2align	8
	.type	_ZN7rocprim17ROCPRIM_400000_NS6detail17trampoline_kernelINS0_14default_configENS1_22reduce_config_selectorI18summary_stats_dataIfEEEZNS1_11reduce_implILb1ES3_N6thrust23THRUST_200600_302600_NS11hip_rocprim26transform_input_iterator_tIS6_NSA_6detail15normal_iteratorINSA_10device_ptrIfEEEE22summary_stats_unary_opIfEEEPS6_S6_23summary_stats_binary_opIfEEE10hipError_tPvRmT1_T2_T3_mT4_P12ihipStream_tbEUlT_E1_NS1_11comp_targetILNS1_3genE3ELNS1_11target_archE908ELNS1_3gpuE7ELNS1_3repE0EEENS1_30default_config_static_selectorELNS0_4arch9wavefront6targetE0EEEvSR_,@function
_ZN7rocprim17ROCPRIM_400000_NS6detail17trampoline_kernelINS0_14default_configENS1_22reduce_config_selectorI18summary_stats_dataIfEEEZNS1_11reduce_implILb1ES3_N6thrust23THRUST_200600_302600_NS11hip_rocprim26transform_input_iterator_tIS6_NSA_6detail15normal_iteratorINSA_10device_ptrIfEEEE22summary_stats_unary_opIfEEEPS6_S6_23summary_stats_binary_opIfEEE10hipError_tPvRmT1_T2_T3_mT4_P12ihipStream_tbEUlT_E1_NS1_11comp_targetILNS1_3genE3ELNS1_11target_archE908ELNS1_3gpuE7ELNS1_3repE0EEENS1_30default_config_static_selectorELNS0_4arch9wavefront6targetE0EEEvSR_: ; @_ZN7rocprim17ROCPRIM_400000_NS6detail17trampoline_kernelINS0_14default_configENS1_22reduce_config_selectorI18summary_stats_dataIfEEEZNS1_11reduce_implILb1ES3_N6thrust23THRUST_200600_302600_NS11hip_rocprim26transform_input_iterator_tIS6_NSA_6detail15normal_iteratorINSA_10device_ptrIfEEEE22summary_stats_unary_opIfEEEPS6_S6_23summary_stats_binary_opIfEEE10hipError_tPvRmT1_T2_T3_mT4_P12ihipStream_tbEUlT_E1_NS1_11comp_targetILNS1_3genE3ELNS1_11target_archE908ELNS1_3gpuE7ELNS1_3repE0EEENS1_30default_config_static_selectorELNS0_4arch9wavefront6targetE0EEEvSR_
; %bb.0:
	.section	.rodata,"a",@progbits
	.p2align	6, 0x0
	.amdhsa_kernel _ZN7rocprim17ROCPRIM_400000_NS6detail17trampoline_kernelINS0_14default_configENS1_22reduce_config_selectorI18summary_stats_dataIfEEEZNS1_11reduce_implILb1ES3_N6thrust23THRUST_200600_302600_NS11hip_rocprim26transform_input_iterator_tIS6_NSA_6detail15normal_iteratorINSA_10device_ptrIfEEEE22summary_stats_unary_opIfEEEPS6_S6_23summary_stats_binary_opIfEEE10hipError_tPvRmT1_T2_T3_mT4_P12ihipStream_tbEUlT_E1_NS1_11comp_targetILNS1_3genE3ELNS1_11target_archE908ELNS1_3gpuE7ELNS1_3repE0EEENS1_30default_config_static_selectorELNS0_4arch9wavefront6targetE0EEEvSR_
		.amdhsa_group_segment_fixed_size 0
		.amdhsa_private_segment_fixed_size 0
		.amdhsa_kernarg_size 72
		.amdhsa_user_sgpr_count 2
		.amdhsa_user_sgpr_dispatch_ptr 0
		.amdhsa_user_sgpr_queue_ptr 0
		.amdhsa_user_sgpr_kernarg_segment_ptr 1
		.amdhsa_user_sgpr_dispatch_id 0
		.amdhsa_user_sgpr_kernarg_preload_length 0
		.amdhsa_user_sgpr_kernarg_preload_offset 0
		.amdhsa_user_sgpr_private_segment_size 0
		.amdhsa_wavefront_size32 1
		.amdhsa_uses_dynamic_stack 0
		.amdhsa_enable_private_segment 0
		.amdhsa_system_sgpr_workgroup_id_x 1
		.amdhsa_system_sgpr_workgroup_id_y 0
		.amdhsa_system_sgpr_workgroup_id_z 0
		.amdhsa_system_sgpr_workgroup_info 0
		.amdhsa_system_vgpr_workitem_id 0
		.amdhsa_next_free_vgpr 1
		.amdhsa_next_free_sgpr 1
		.amdhsa_named_barrier_count 0
		.amdhsa_reserve_vcc 0
		.amdhsa_float_round_mode_32 0
		.amdhsa_float_round_mode_16_64 0
		.amdhsa_float_denorm_mode_32 3
		.amdhsa_float_denorm_mode_16_64 3
		.amdhsa_fp16_overflow 0
		.amdhsa_memory_ordered 1
		.amdhsa_forward_progress 1
		.amdhsa_inst_pref_size 0
		.amdhsa_round_robin_scheduling 0
		.amdhsa_exception_fp_ieee_invalid_op 0
		.amdhsa_exception_fp_denorm_src 0
		.amdhsa_exception_fp_ieee_div_zero 0
		.amdhsa_exception_fp_ieee_overflow 0
		.amdhsa_exception_fp_ieee_underflow 0
		.amdhsa_exception_fp_ieee_inexact 0
		.amdhsa_exception_int_div_zero 0
	.end_amdhsa_kernel
	.section	.text._ZN7rocprim17ROCPRIM_400000_NS6detail17trampoline_kernelINS0_14default_configENS1_22reduce_config_selectorI18summary_stats_dataIfEEEZNS1_11reduce_implILb1ES3_N6thrust23THRUST_200600_302600_NS11hip_rocprim26transform_input_iterator_tIS6_NSA_6detail15normal_iteratorINSA_10device_ptrIfEEEE22summary_stats_unary_opIfEEEPS6_S6_23summary_stats_binary_opIfEEE10hipError_tPvRmT1_T2_T3_mT4_P12ihipStream_tbEUlT_E1_NS1_11comp_targetILNS1_3genE3ELNS1_11target_archE908ELNS1_3gpuE7ELNS1_3repE0EEENS1_30default_config_static_selectorELNS0_4arch9wavefront6targetE0EEEvSR_,"axG",@progbits,_ZN7rocprim17ROCPRIM_400000_NS6detail17trampoline_kernelINS0_14default_configENS1_22reduce_config_selectorI18summary_stats_dataIfEEEZNS1_11reduce_implILb1ES3_N6thrust23THRUST_200600_302600_NS11hip_rocprim26transform_input_iterator_tIS6_NSA_6detail15normal_iteratorINSA_10device_ptrIfEEEE22summary_stats_unary_opIfEEEPS6_S6_23summary_stats_binary_opIfEEE10hipError_tPvRmT1_T2_T3_mT4_P12ihipStream_tbEUlT_E1_NS1_11comp_targetILNS1_3genE3ELNS1_11target_archE908ELNS1_3gpuE7ELNS1_3repE0EEENS1_30default_config_static_selectorELNS0_4arch9wavefront6targetE0EEEvSR_,comdat
.Lfunc_end30:
	.size	_ZN7rocprim17ROCPRIM_400000_NS6detail17trampoline_kernelINS0_14default_configENS1_22reduce_config_selectorI18summary_stats_dataIfEEEZNS1_11reduce_implILb1ES3_N6thrust23THRUST_200600_302600_NS11hip_rocprim26transform_input_iterator_tIS6_NSA_6detail15normal_iteratorINSA_10device_ptrIfEEEE22summary_stats_unary_opIfEEEPS6_S6_23summary_stats_binary_opIfEEE10hipError_tPvRmT1_T2_T3_mT4_P12ihipStream_tbEUlT_E1_NS1_11comp_targetILNS1_3genE3ELNS1_11target_archE908ELNS1_3gpuE7ELNS1_3repE0EEENS1_30default_config_static_selectorELNS0_4arch9wavefront6targetE0EEEvSR_, .Lfunc_end30-_ZN7rocprim17ROCPRIM_400000_NS6detail17trampoline_kernelINS0_14default_configENS1_22reduce_config_selectorI18summary_stats_dataIfEEEZNS1_11reduce_implILb1ES3_N6thrust23THRUST_200600_302600_NS11hip_rocprim26transform_input_iterator_tIS6_NSA_6detail15normal_iteratorINSA_10device_ptrIfEEEE22summary_stats_unary_opIfEEEPS6_S6_23summary_stats_binary_opIfEEE10hipError_tPvRmT1_T2_T3_mT4_P12ihipStream_tbEUlT_E1_NS1_11comp_targetILNS1_3genE3ELNS1_11target_archE908ELNS1_3gpuE7ELNS1_3repE0EEENS1_30default_config_static_selectorELNS0_4arch9wavefront6targetE0EEEvSR_
                                        ; -- End function
	.set _ZN7rocprim17ROCPRIM_400000_NS6detail17trampoline_kernelINS0_14default_configENS1_22reduce_config_selectorI18summary_stats_dataIfEEEZNS1_11reduce_implILb1ES3_N6thrust23THRUST_200600_302600_NS11hip_rocprim26transform_input_iterator_tIS6_NSA_6detail15normal_iteratorINSA_10device_ptrIfEEEE22summary_stats_unary_opIfEEEPS6_S6_23summary_stats_binary_opIfEEE10hipError_tPvRmT1_T2_T3_mT4_P12ihipStream_tbEUlT_E1_NS1_11comp_targetILNS1_3genE3ELNS1_11target_archE908ELNS1_3gpuE7ELNS1_3repE0EEENS1_30default_config_static_selectorELNS0_4arch9wavefront6targetE0EEEvSR_.num_vgpr, 0
	.set _ZN7rocprim17ROCPRIM_400000_NS6detail17trampoline_kernelINS0_14default_configENS1_22reduce_config_selectorI18summary_stats_dataIfEEEZNS1_11reduce_implILb1ES3_N6thrust23THRUST_200600_302600_NS11hip_rocprim26transform_input_iterator_tIS6_NSA_6detail15normal_iteratorINSA_10device_ptrIfEEEE22summary_stats_unary_opIfEEEPS6_S6_23summary_stats_binary_opIfEEE10hipError_tPvRmT1_T2_T3_mT4_P12ihipStream_tbEUlT_E1_NS1_11comp_targetILNS1_3genE3ELNS1_11target_archE908ELNS1_3gpuE7ELNS1_3repE0EEENS1_30default_config_static_selectorELNS0_4arch9wavefront6targetE0EEEvSR_.num_agpr, 0
	.set _ZN7rocprim17ROCPRIM_400000_NS6detail17trampoline_kernelINS0_14default_configENS1_22reduce_config_selectorI18summary_stats_dataIfEEEZNS1_11reduce_implILb1ES3_N6thrust23THRUST_200600_302600_NS11hip_rocprim26transform_input_iterator_tIS6_NSA_6detail15normal_iteratorINSA_10device_ptrIfEEEE22summary_stats_unary_opIfEEEPS6_S6_23summary_stats_binary_opIfEEE10hipError_tPvRmT1_T2_T3_mT4_P12ihipStream_tbEUlT_E1_NS1_11comp_targetILNS1_3genE3ELNS1_11target_archE908ELNS1_3gpuE7ELNS1_3repE0EEENS1_30default_config_static_selectorELNS0_4arch9wavefront6targetE0EEEvSR_.numbered_sgpr, 0
	.set _ZN7rocprim17ROCPRIM_400000_NS6detail17trampoline_kernelINS0_14default_configENS1_22reduce_config_selectorI18summary_stats_dataIfEEEZNS1_11reduce_implILb1ES3_N6thrust23THRUST_200600_302600_NS11hip_rocprim26transform_input_iterator_tIS6_NSA_6detail15normal_iteratorINSA_10device_ptrIfEEEE22summary_stats_unary_opIfEEEPS6_S6_23summary_stats_binary_opIfEEE10hipError_tPvRmT1_T2_T3_mT4_P12ihipStream_tbEUlT_E1_NS1_11comp_targetILNS1_3genE3ELNS1_11target_archE908ELNS1_3gpuE7ELNS1_3repE0EEENS1_30default_config_static_selectorELNS0_4arch9wavefront6targetE0EEEvSR_.num_named_barrier, 0
	.set _ZN7rocprim17ROCPRIM_400000_NS6detail17trampoline_kernelINS0_14default_configENS1_22reduce_config_selectorI18summary_stats_dataIfEEEZNS1_11reduce_implILb1ES3_N6thrust23THRUST_200600_302600_NS11hip_rocprim26transform_input_iterator_tIS6_NSA_6detail15normal_iteratorINSA_10device_ptrIfEEEE22summary_stats_unary_opIfEEEPS6_S6_23summary_stats_binary_opIfEEE10hipError_tPvRmT1_T2_T3_mT4_P12ihipStream_tbEUlT_E1_NS1_11comp_targetILNS1_3genE3ELNS1_11target_archE908ELNS1_3gpuE7ELNS1_3repE0EEENS1_30default_config_static_selectorELNS0_4arch9wavefront6targetE0EEEvSR_.private_seg_size, 0
	.set _ZN7rocprim17ROCPRIM_400000_NS6detail17trampoline_kernelINS0_14default_configENS1_22reduce_config_selectorI18summary_stats_dataIfEEEZNS1_11reduce_implILb1ES3_N6thrust23THRUST_200600_302600_NS11hip_rocprim26transform_input_iterator_tIS6_NSA_6detail15normal_iteratorINSA_10device_ptrIfEEEE22summary_stats_unary_opIfEEEPS6_S6_23summary_stats_binary_opIfEEE10hipError_tPvRmT1_T2_T3_mT4_P12ihipStream_tbEUlT_E1_NS1_11comp_targetILNS1_3genE3ELNS1_11target_archE908ELNS1_3gpuE7ELNS1_3repE0EEENS1_30default_config_static_selectorELNS0_4arch9wavefront6targetE0EEEvSR_.uses_vcc, 0
	.set _ZN7rocprim17ROCPRIM_400000_NS6detail17trampoline_kernelINS0_14default_configENS1_22reduce_config_selectorI18summary_stats_dataIfEEEZNS1_11reduce_implILb1ES3_N6thrust23THRUST_200600_302600_NS11hip_rocprim26transform_input_iterator_tIS6_NSA_6detail15normal_iteratorINSA_10device_ptrIfEEEE22summary_stats_unary_opIfEEEPS6_S6_23summary_stats_binary_opIfEEE10hipError_tPvRmT1_T2_T3_mT4_P12ihipStream_tbEUlT_E1_NS1_11comp_targetILNS1_3genE3ELNS1_11target_archE908ELNS1_3gpuE7ELNS1_3repE0EEENS1_30default_config_static_selectorELNS0_4arch9wavefront6targetE0EEEvSR_.uses_flat_scratch, 0
	.set _ZN7rocprim17ROCPRIM_400000_NS6detail17trampoline_kernelINS0_14default_configENS1_22reduce_config_selectorI18summary_stats_dataIfEEEZNS1_11reduce_implILb1ES3_N6thrust23THRUST_200600_302600_NS11hip_rocprim26transform_input_iterator_tIS6_NSA_6detail15normal_iteratorINSA_10device_ptrIfEEEE22summary_stats_unary_opIfEEEPS6_S6_23summary_stats_binary_opIfEEE10hipError_tPvRmT1_T2_T3_mT4_P12ihipStream_tbEUlT_E1_NS1_11comp_targetILNS1_3genE3ELNS1_11target_archE908ELNS1_3gpuE7ELNS1_3repE0EEENS1_30default_config_static_selectorELNS0_4arch9wavefront6targetE0EEEvSR_.has_dyn_sized_stack, 0
	.set _ZN7rocprim17ROCPRIM_400000_NS6detail17trampoline_kernelINS0_14default_configENS1_22reduce_config_selectorI18summary_stats_dataIfEEEZNS1_11reduce_implILb1ES3_N6thrust23THRUST_200600_302600_NS11hip_rocprim26transform_input_iterator_tIS6_NSA_6detail15normal_iteratorINSA_10device_ptrIfEEEE22summary_stats_unary_opIfEEEPS6_S6_23summary_stats_binary_opIfEEE10hipError_tPvRmT1_T2_T3_mT4_P12ihipStream_tbEUlT_E1_NS1_11comp_targetILNS1_3genE3ELNS1_11target_archE908ELNS1_3gpuE7ELNS1_3repE0EEENS1_30default_config_static_selectorELNS0_4arch9wavefront6targetE0EEEvSR_.has_recursion, 0
	.set _ZN7rocprim17ROCPRIM_400000_NS6detail17trampoline_kernelINS0_14default_configENS1_22reduce_config_selectorI18summary_stats_dataIfEEEZNS1_11reduce_implILb1ES3_N6thrust23THRUST_200600_302600_NS11hip_rocprim26transform_input_iterator_tIS6_NSA_6detail15normal_iteratorINSA_10device_ptrIfEEEE22summary_stats_unary_opIfEEEPS6_S6_23summary_stats_binary_opIfEEE10hipError_tPvRmT1_T2_T3_mT4_P12ihipStream_tbEUlT_E1_NS1_11comp_targetILNS1_3genE3ELNS1_11target_archE908ELNS1_3gpuE7ELNS1_3repE0EEENS1_30default_config_static_selectorELNS0_4arch9wavefront6targetE0EEEvSR_.has_indirect_call, 0
	.section	.AMDGPU.csdata,"",@progbits
; Kernel info:
; codeLenInByte = 0
; TotalNumSgprs: 0
; NumVgprs: 0
; ScratchSize: 0
; MemoryBound: 0
; FloatMode: 240
; IeeeMode: 1
; LDSByteSize: 0 bytes/workgroup (compile time only)
; SGPRBlocks: 0
; VGPRBlocks: 0
; NumSGPRsForWavesPerEU: 1
; NumVGPRsForWavesPerEU: 1
; NamedBarCnt: 0
; Occupancy: 16
; WaveLimiterHint : 0
; COMPUTE_PGM_RSRC2:SCRATCH_EN: 0
; COMPUTE_PGM_RSRC2:USER_SGPR: 2
; COMPUTE_PGM_RSRC2:TRAP_HANDLER: 0
; COMPUTE_PGM_RSRC2:TGID_X_EN: 1
; COMPUTE_PGM_RSRC2:TGID_Y_EN: 0
; COMPUTE_PGM_RSRC2:TGID_Z_EN: 0
; COMPUTE_PGM_RSRC2:TIDIG_COMP_CNT: 0
	.section	.text._ZN7rocprim17ROCPRIM_400000_NS6detail17trampoline_kernelINS0_14default_configENS1_22reduce_config_selectorI18summary_stats_dataIfEEEZNS1_11reduce_implILb1ES3_N6thrust23THRUST_200600_302600_NS11hip_rocprim26transform_input_iterator_tIS6_NSA_6detail15normal_iteratorINSA_10device_ptrIfEEEE22summary_stats_unary_opIfEEEPS6_S6_23summary_stats_binary_opIfEEE10hipError_tPvRmT1_T2_T3_mT4_P12ihipStream_tbEUlT_E1_NS1_11comp_targetILNS1_3genE2ELNS1_11target_archE906ELNS1_3gpuE6ELNS1_3repE0EEENS1_30default_config_static_selectorELNS0_4arch9wavefront6targetE0EEEvSR_,"axG",@progbits,_ZN7rocprim17ROCPRIM_400000_NS6detail17trampoline_kernelINS0_14default_configENS1_22reduce_config_selectorI18summary_stats_dataIfEEEZNS1_11reduce_implILb1ES3_N6thrust23THRUST_200600_302600_NS11hip_rocprim26transform_input_iterator_tIS6_NSA_6detail15normal_iteratorINSA_10device_ptrIfEEEE22summary_stats_unary_opIfEEEPS6_S6_23summary_stats_binary_opIfEEE10hipError_tPvRmT1_T2_T3_mT4_P12ihipStream_tbEUlT_E1_NS1_11comp_targetILNS1_3genE2ELNS1_11target_archE906ELNS1_3gpuE6ELNS1_3repE0EEENS1_30default_config_static_selectorELNS0_4arch9wavefront6targetE0EEEvSR_,comdat
	.protected	_ZN7rocprim17ROCPRIM_400000_NS6detail17trampoline_kernelINS0_14default_configENS1_22reduce_config_selectorI18summary_stats_dataIfEEEZNS1_11reduce_implILb1ES3_N6thrust23THRUST_200600_302600_NS11hip_rocprim26transform_input_iterator_tIS6_NSA_6detail15normal_iteratorINSA_10device_ptrIfEEEE22summary_stats_unary_opIfEEEPS6_S6_23summary_stats_binary_opIfEEE10hipError_tPvRmT1_T2_T3_mT4_P12ihipStream_tbEUlT_E1_NS1_11comp_targetILNS1_3genE2ELNS1_11target_archE906ELNS1_3gpuE6ELNS1_3repE0EEENS1_30default_config_static_selectorELNS0_4arch9wavefront6targetE0EEEvSR_ ; -- Begin function _ZN7rocprim17ROCPRIM_400000_NS6detail17trampoline_kernelINS0_14default_configENS1_22reduce_config_selectorI18summary_stats_dataIfEEEZNS1_11reduce_implILb1ES3_N6thrust23THRUST_200600_302600_NS11hip_rocprim26transform_input_iterator_tIS6_NSA_6detail15normal_iteratorINSA_10device_ptrIfEEEE22summary_stats_unary_opIfEEEPS6_S6_23summary_stats_binary_opIfEEE10hipError_tPvRmT1_T2_T3_mT4_P12ihipStream_tbEUlT_E1_NS1_11comp_targetILNS1_3genE2ELNS1_11target_archE906ELNS1_3gpuE6ELNS1_3repE0EEENS1_30default_config_static_selectorELNS0_4arch9wavefront6targetE0EEEvSR_
	.globl	_ZN7rocprim17ROCPRIM_400000_NS6detail17trampoline_kernelINS0_14default_configENS1_22reduce_config_selectorI18summary_stats_dataIfEEEZNS1_11reduce_implILb1ES3_N6thrust23THRUST_200600_302600_NS11hip_rocprim26transform_input_iterator_tIS6_NSA_6detail15normal_iteratorINSA_10device_ptrIfEEEE22summary_stats_unary_opIfEEEPS6_S6_23summary_stats_binary_opIfEEE10hipError_tPvRmT1_T2_T3_mT4_P12ihipStream_tbEUlT_E1_NS1_11comp_targetILNS1_3genE2ELNS1_11target_archE906ELNS1_3gpuE6ELNS1_3repE0EEENS1_30default_config_static_selectorELNS0_4arch9wavefront6targetE0EEEvSR_
	.p2align	8
	.type	_ZN7rocprim17ROCPRIM_400000_NS6detail17trampoline_kernelINS0_14default_configENS1_22reduce_config_selectorI18summary_stats_dataIfEEEZNS1_11reduce_implILb1ES3_N6thrust23THRUST_200600_302600_NS11hip_rocprim26transform_input_iterator_tIS6_NSA_6detail15normal_iteratorINSA_10device_ptrIfEEEE22summary_stats_unary_opIfEEEPS6_S6_23summary_stats_binary_opIfEEE10hipError_tPvRmT1_T2_T3_mT4_P12ihipStream_tbEUlT_E1_NS1_11comp_targetILNS1_3genE2ELNS1_11target_archE906ELNS1_3gpuE6ELNS1_3repE0EEENS1_30default_config_static_selectorELNS0_4arch9wavefront6targetE0EEEvSR_,@function
_ZN7rocprim17ROCPRIM_400000_NS6detail17trampoline_kernelINS0_14default_configENS1_22reduce_config_selectorI18summary_stats_dataIfEEEZNS1_11reduce_implILb1ES3_N6thrust23THRUST_200600_302600_NS11hip_rocprim26transform_input_iterator_tIS6_NSA_6detail15normal_iteratorINSA_10device_ptrIfEEEE22summary_stats_unary_opIfEEEPS6_S6_23summary_stats_binary_opIfEEE10hipError_tPvRmT1_T2_T3_mT4_P12ihipStream_tbEUlT_E1_NS1_11comp_targetILNS1_3genE2ELNS1_11target_archE906ELNS1_3gpuE6ELNS1_3repE0EEENS1_30default_config_static_selectorELNS0_4arch9wavefront6targetE0EEEvSR_: ; @_ZN7rocprim17ROCPRIM_400000_NS6detail17trampoline_kernelINS0_14default_configENS1_22reduce_config_selectorI18summary_stats_dataIfEEEZNS1_11reduce_implILb1ES3_N6thrust23THRUST_200600_302600_NS11hip_rocprim26transform_input_iterator_tIS6_NSA_6detail15normal_iteratorINSA_10device_ptrIfEEEE22summary_stats_unary_opIfEEEPS6_S6_23summary_stats_binary_opIfEEE10hipError_tPvRmT1_T2_T3_mT4_P12ihipStream_tbEUlT_E1_NS1_11comp_targetILNS1_3genE2ELNS1_11target_archE906ELNS1_3gpuE6ELNS1_3repE0EEENS1_30default_config_static_selectorELNS0_4arch9wavefront6targetE0EEEvSR_
; %bb.0:
	.section	.rodata,"a",@progbits
	.p2align	6, 0x0
	.amdhsa_kernel _ZN7rocprim17ROCPRIM_400000_NS6detail17trampoline_kernelINS0_14default_configENS1_22reduce_config_selectorI18summary_stats_dataIfEEEZNS1_11reduce_implILb1ES3_N6thrust23THRUST_200600_302600_NS11hip_rocprim26transform_input_iterator_tIS6_NSA_6detail15normal_iteratorINSA_10device_ptrIfEEEE22summary_stats_unary_opIfEEEPS6_S6_23summary_stats_binary_opIfEEE10hipError_tPvRmT1_T2_T3_mT4_P12ihipStream_tbEUlT_E1_NS1_11comp_targetILNS1_3genE2ELNS1_11target_archE906ELNS1_3gpuE6ELNS1_3repE0EEENS1_30default_config_static_selectorELNS0_4arch9wavefront6targetE0EEEvSR_
		.amdhsa_group_segment_fixed_size 0
		.amdhsa_private_segment_fixed_size 0
		.amdhsa_kernarg_size 72
		.amdhsa_user_sgpr_count 2
		.amdhsa_user_sgpr_dispatch_ptr 0
		.amdhsa_user_sgpr_queue_ptr 0
		.amdhsa_user_sgpr_kernarg_segment_ptr 1
		.amdhsa_user_sgpr_dispatch_id 0
		.amdhsa_user_sgpr_kernarg_preload_length 0
		.amdhsa_user_sgpr_kernarg_preload_offset 0
		.amdhsa_user_sgpr_private_segment_size 0
		.amdhsa_wavefront_size32 1
		.amdhsa_uses_dynamic_stack 0
		.amdhsa_enable_private_segment 0
		.amdhsa_system_sgpr_workgroup_id_x 1
		.amdhsa_system_sgpr_workgroup_id_y 0
		.amdhsa_system_sgpr_workgroup_id_z 0
		.amdhsa_system_sgpr_workgroup_info 0
		.amdhsa_system_vgpr_workitem_id 0
		.amdhsa_next_free_vgpr 1
		.amdhsa_next_free_sgpr 1
		.amdhsa_named_barrier_count 0
		.amdhsa_reserve_vcc 0
		.amdhsa_float_round_mode_32 0
		.amdhsa_float_round_mode_16_64 0
		.amdhsa_float_denorm_mode_32 3
		.amdhsa_float_denorm_mode_16_64 3
		.amdhsa_fp16_overflow 0
		.amdhsa_memory_ordered 1
		.amdhsa_forward_progress 1
		.amdhsa_inst_pref_size 0
		.amdhsa_round_robin_scheduling 0
		.amdhsa_exception_fp_ieee_invalid_op 0
		.amdhsa_exception_fp_denorm_src 0
		.amdhsa_exception_fp_ieee_div_zero 0
		.amdhsa_exception_fp_ieee_overflow 0
		.amdhsa_exception_fp_ieee_underflow 0
		.amdhsa_exception_fp_ieee_inexact 0
		.amdhsa_exception_int_div_zero 0
	.end_amdhsa_kernel
	.section	.text._ZN7rocprim17ROCPRIM_400000_NS6detail17trampoline_kernelINS0_14default_configENS1_22reduce_config_selectorI18summary_stats_dataIfEEEZNS1_11reduce_implILb1ES3_N6thrust23THRUST_200600_302600_NS11hip_rocprim26transform_input_iterator_tIS6_NSA_6detail15normal_iteratorINSA_10device_ptrIfEEEE22summary_stats_unary_opIfEEEPS6_S6_23summary_stats_binary_opIfEEE10hipError_tPvRmT1_T2_T3_mT4_P12ihipStream_tbEUlT_E1_NS1_11comp_targetILNS1_3genE2ELNS1_11target_archE906ELNS1_3gpuE6ELNS1_3repE0EEENS1_30default_config_static_selectorELNS0_4arch9wavefront6targetE0EEEvSR_,"axG",@progbits,_ZN7rocprim17ROCPRIM_400000_NS6detail17trampoline_kernelINS0_14default_configENS1_22reduce_config_selectorI18summary_stats_dataIfEEEZNS1_11reduce_implILb1ES3_N6thrust23THRUST_200600_302600_NS11hip_rocprim26transform_input_iterator_tIS6_NSA_6detail15normal_iteratorINSA_10device_ptrIfEEEE22summary_stats_unary_opIfEEEPS6_S6_23summary_stats_binary_opIfEEE10hipError_tPvRmT1_T2_T3_mT4_P12ihipStream_tbEUlT_E1_NS1_11comp_targetILNS1_3genE2ELNS1_11target_archE906ELNS1_3gpuE6ELNS1_3repE0EEENS1_30default_config_static_selectorELNS0_4arch9wavefront6targetE0EEEvSR_,comdat
.Lfunc_end31:
	.size	_ZN7rocprim17ROCPRIM_400000_NS6detail17trampoline_kernelINS0_14default_configENS1_22reduce_config_selectorI18summary_stats_dataIfEEEZNS1_11reduce_implILb1ES3_N6thrust23THRUST_200600_302600_NS11hip_rocprim26transform_input_iterator_tIS6_NSA_6detail15normal_iteratorINSA_10device_ptrIfEEEE22summary_stats_unary_opIfEEEPS6_S6_23summary_stats_binary_opIfEEE10hipError_tPvRmT1_T2_T3_mT4_P12ihipStream_tbEUlT_E1_NS1_11comp_targetILNS1_3genE2ELNS1_11target_archE906ELNS1_3gpuE6ELNS1_3repE0EEENS1_30default_config_static_selectorELNS0_4arch9wavefront6targetE0EEEvSR_, .Lfunc_end31-_ZN7rocprim17ROCPRIM_400000_NS6detail17trampoline_kernelINS0_14default_configENS1_22reduce_config_selectorI18summary_stats_dataIfEEEZNS1_11reduce_implILb1ES3_N6thrust23THRUST_200600_302600_NS11hip_rocprim26transform_input_iterator_tIS6_NSA_6detail15normal_iteratorINSA_10device_ptrIfEEEE22summary_stats_unary_opIfEEEPS6_S6_23summary_stats_binary_opIfEEE10hipError_tPvRmT1_T2_T3_mT4_P12ihipStream_tbEUlT_E1_NS1_11comp_targetILNS1_3genE2ELNS1_11target_archE906ELNS1_3gpuE6ELNS1_3repE0EEENS1_30default_config_static_selectorELNS0_4arch9wavefront6targetE0EEEvSR_
                                        ; -- End function
	.set _ZN7rocprim17ROCPRIM_400000_NS6detail17trampoline_kernelINS0_14default_configENS1_22reduce_config_selectorI18summary_stats_dataIfEEEZNS1_11reduce_implILb1ES3_N6thrust23THRUST_200600_302600_NS11hip_rocprim26transform_input_iterator_tIS6_NSA_6detail15normal_iteratorINSA_10device_ptrIfEEEE22summary_stats_unary_opIfEEEPS6_S6_23summary_stats_binary_opIfEEE10hipError_tPvRmT1_T2_T3_mT4_P12ihipStream_tbEUlT_E1_NS1_11comp_targetILNS1_3genE2ELNS1_11target_archE906ELNS1_3gpuE6ELNS1_3repE0EEENS1_30default_config_static_selectorELNS0_4arch9wavefront6targetE0EEEvSR_.num_vgpr, 0
	.set _ZN7rocprim17ROCPRIM_400000_NS6detail17trampoline_kernelINS0_14default_configENS1_22reduce_config_selectorI18summary_stats_dataIfEEEZNS1_11reduce_implILb1ES3_N6thrust23THRUST_200600_302600_NS11hip_rocprim26transform_input_iterator_tIS6_NSA_6detail15normal_iteratorINSA_10device_ptrIfEEEE22summary_stats_unary_opIfEEEPS6_S6_23summary_stats_binary_opIfEEE10hipError_tPvRmT1_T2_T3_mT4_P12ihipStream_tbEUlT_E1_NS1_11comp_targetILNS1_3genE2ELNS1_11target_archE906ELNS1_3gpuE6ELNS1_3repE0EEENS1_30default_config_static_selectorELNS0_4arch9wavefront6targetE0EEEvSR_.num_agpr, 0
	.set _ZN7rocprim17ROCPRIM_400000_NS6detail17trampoline_kernelINS0_14default_configENS1_22reduce_config_selectorI18summary_stats_dataIfEEEZNS1_11reduce_implILb1ES3_N6thrust23THRUST_200600_302600_NS11hip_rocprim26transform_input_iterator_tIS6_NSA_6detail15normal_iteratorINSA_10device_ptrIfEEEE22summary_stats_unary_opIfEEEPS6_S6_23summary_stats_binary_opIfEEE10hipError_tPvRmT1_T2_T3_mT4_P12ihipStream_tbEUlT_E1_NS1_11comp_targetILNS1_3genE2ELNS1_11target_archE906ELNS1_3gpuE6ELNS1_3repE0EEENS1_30default_config_static_selectorELNS0_4arch9wavefront6targetE0EEEvSR_.numbered_sgpr, 0
	.set _ZN7rocprim17ROCPRIM_400000_NS6detail17trampoline_kernelINS0_14default_configENS1_22reduce_config_selectorI18summary_stats_dataIfEEEZNS1_11reduce_implILb1ES3_N6thrust23THRUST_200600_302600_NS11hip_rocprim26transform_input_iterator_tIS6_NSA_6detail15normal_iteratorINSA_10device_ptrIfEEEE22summary_stats_unary_opIfEEEPS6_S6_23summary_stats_binary_opIfEEE10hipError_tPvRmT1_T2_T3_mT4_P12ihipStream_tbEUlT_E1_NS1_11comp_targetILNS1_3genE2ELNS1_11target_archE906ELNS1_3gpuE6ELNS1_3repE0EEENS1_30default_config_static_selectorELNS0_4arch9wavefront6targetE0EEEvSR_.num_named_barrier, 0
	.set _ZN7rocprim17ROCPRIM_400000_NS6detail17trampoline_kernelINS0_14default_configENS1_22reduce_config_selectorI18summary_stats_dataIfEEEZNS1_11reduce_implILb1ES3_N6thrust23THRUST_200600_302600_NS11hip_rocprim26transform_input_iterator_tIS6_NSA_6detail15normal_iteratorINSA_10device_ptrIfEEEE22summary_stats_unary_opIfEEEPS6_S6_23summary_stats_binary_opIfEEE10hipError_tPvRmT1_T2_T3_mT4_P12ihipStream_tbEUlT_E1_NS1_11comp_targetILNS1_3genE2ELNS1_11target_archE906ELNS1_3gpuE6ELNS1_3repE0EEENS1_30default_config_static_selectorELNS0_4arch9wavefront6targetE0EEEvSR_.private_seg_size, 0
	.set _ZN7rocprim17ROCPRIM_400000_NS6detail17trampoline_kernelINS0_14default_configENS1_22reduce_config_selectorI18summary_stats_dataIfEEEZNS1_11reduce_implILb1ES3_N6thrust23THRUST_200600_302600_NS11hip_rocprim26transform_input_iterator_tIS6_NSA_6detail15normal_iteratorINSA_10device_ptrIfEEEE22summary_stats_unary_opIfEEEPS6_S6_23summary_stats_binary_opIfEEE10hipError_tPvRmT1_T2_T3_mT4_P12ihipStream_tbEUlT_E1_NS1_11comp_targetILNS1_3genE2ELNS1_11target_archE906ELNS1_3gpuE6ELNS1_3repE0EEENS1_30default_config_static_selectorELNS0_4arch9wavefront6targetE0EEEvSR_.uses_vcc, 0
	.set _ZN7rocprim17ROCPRIM_400000_NS6detail17trampoline_kernelINS0_14default_configENS1_22reduce_config_selectorI18summary_stats_dataIfEEEZNS1_11reduce_implILb1ES3_N6thrust23THRUST_200600_302600_NS11hip_rocprim26transform_input_iterator_tIS6_NSA_6detail15normal_iteratorINSA_10device_ptrIfEEEE22summary_stats_unary_opIfEEEPS6_S6_23summary_stats_binary_opIfEEE10hipError_tPvRmT1_T2_T3_mT4_P12ihipStream_tbEUlT_E1_NS1_11comp_targetILNS1_3genE2ELNS1_11target_archE906ELNS1_3gpuE6ELNS1_3repE0EEENS1_30default_config_static_selectorELNS0_4arch9wavefront6targetE0EEEvSR_.uses_flat_scratch, 0
	.set _ZN7rocprim17ROCPRIM_400000_NS6detail17trampoline_kernelINS0_14default_configENS1_22reduce_config_selectorI18summary_stats_dataIfEEEZNS1_11reduce_implILb1ES3_N6thrust23THRUST_200600_302600_NS11hip_rocprim26transform_input_iterator_tIS6_NSA_6detail15normal_iteratorINSA_10device_ptrIfEEEE22summary_stats_unary_opIfEEEPS6_S6_23summary_stats_binary_opIfEEE10hipError_tPvRmT1_T2_T3_mT4_P12ihipStream_tbEUlT_E1_NS1_11comp_targetILNS1_3genE2ELNS1_11target_archE906ELNS1_3gpuE6ELNS1_3repE0EEENS1_30default_config_static_selectorELNS0_4arch9wavefront6targetE0EEEvSR_.has_dyn_sized_stack, 0
	.set _ZN7rocprim17ROCPRIM_400000_NS6detail17trampoline_kernelINS0_14default_configENS1_22reduce_config_selectorI18summary_stats_dataIfEEEZNS1_11reduce_implILb1ES3_N6thrust23THRUST_200600_302600_NS11hip_rocprim26transform_input_iterator_tIS6_NSA_6detail15normal_iteratorINSA_10device_ptrIfEEEE22summary_stats_unary_opIfEEEPS6_S6_23summary_stats_binary_opIfEEE10hipError_tPvRmT1_T2_T3_mT4_P12ihipStream_tbEUlT_E1_NS1_11comp_targetILNS1_3genE2ELNS1_11target_archE906ELNS1_3gpuE6ELNS1_3repE0EEENS1_30default_config_static_selectorELNS0_4arch9wavefront6targetE0EEEvSR_.has_recursion, 0
	.set _ZN7rocprim17ROCPRIM_400000_NS6detail17trampoline_kernelINS0_14default_configENS1_22reduce_config_selectorI18summary_stats_dataIfEEEZNS1_11reduce_implILb1ES3_N6thrust23THRUST_200600_302600_NS11hip_rocprim26transform_input_iterator_tIS6_NSA_6detail15normal_iteratorINSA_10device_ptrIfEEEE22summary_stats_unary_opIfEEEPS6_S6_23summary_stats_binary_opIfEEE10hipError_tPvRmT1_T2_T3_mT4_P12ihipStream_tbEUlT_E1_NS1_11comp_targetILNS1_3genE2ELNS1_11target_archE906ELNS1_3gpuE6ELNS1_3repE0EEENS1_30default_config_static_selectorELNS0_4arch9wavefront6targetE0EEEvSR_.has_indirect_call, 0
	.section	.AMDGPU.csdata,"",@progbits
; Kernel info:
; codeLenInByte = 0
; TotalNumSgprs: 0
; NumVgprs: 0
; ScratchSize: 0
; MemoryBound: 0
; FloatMode: 240
; IeeeMode: 1
; LDSByteSize: 0 bytes/workgroup (compile time only)
; SGPRBlocks: 0
; VGPRBlocks: 0
; NumSGPRsForWavesPerEU: 1
; NumVGPRsForWavesPerEU: 1
; NamedBarCnt: 0
; Occupancy: 16
; WaveLimiterHint : 0
; COMPUTE_PGM_RSRC2:SCRATCH_EN: 0
; COMPUTE_PGM_RSRC2:USER_SGPR: 2
; COMPUTE_PGM_RSRC2:TRAP_HANDLER: 0
; COMPUTE_PGM_RSRC2:TGID_X_EN: 1
; COMPUTE_PGM_RSRC2:TGID_Y_EN: 0
; COMPUTE_PGM_RSRC2:TGID_Z_EN: 0
; COMPUTE_PGM_RSRC2:TIDIG_COMP_CNT: 0
	.section	.text._ZN7rocprim17ROCPRIM_400000_NS6detail17trampoline_kernelINS0_14default_configENS1_22reduce_config_selectorI18summary_stats_dataIfEEEZNS1_11reduce_implILb1ES3_N6thrust23THRUST_200600_302600_NS11hip_rocprim26transform_input_iterator_tIS6_NSA_6detail15normal_iteratorINSA_10device_ptrIfEEEE22summary_stats_unary_opIfEEEPS6_S6_23summary_stats_binary_opIfEEE10hipError_tPvRmT1_T2_T3_mT4_P12ihipStream_tbEUlT_E1_NS1_11comp_targetILNS1_3genE10ELNS1_11target_archE1201ELNS1_3gpuE5ELNS1_3repE0EEENS1_30default_config_static_selectorELNS0_4arch9wavefront6targetE0EEEvSR_,"axG",@progbits,_ZN7rocprim17ROCPRIM_400000_NS6detail17trampoline_kernelINS0_14default_configENS1_22reduce_config_selectorI18summary_stats_dataIfEEEZNS1_11reduce_implILb1ES3_N6thrust23THRUST_200600_302600_NS11hip_rocprim26transform_input_iterator_tIS6_NSA_6detail15normal_iteratorINSA_10device_ptrIfEEEE22summary_stats_unary_opIfEEEPS6_S6_23summary_stats_binary_opIfEEE10hipError_tPvRmT1_T2_T3_mT4_P12ihipStream_tbEUlT_E1_NS1_11comp_targetILNS1_3genE10ELNS1_11target_archE1201ELNS1_3gpuE5ELNS1_3repE0EEENS1_30default_config_static_selectorELNS0_4arch9wavefront6targetE0EEEvSR_,comdat
	.protected	_ZN7rocprim17ROCPRIM_400000_NS6detail17trampoline_kernelINS0_14default_configENS1_22reduce_config_selectorI18summary_stats_dataIfEEEZNS1_11reduce_implILb1ES3_N6thrust23THRUST_200600_302600_NS11hip_rocprim26transform_input_iterator_tIS6_NSA_6detail15normal_iteratorINSA_10device_ptrIfEEEE22summary_stats_unary_opIfEEEPS6_S6_23summary_stats_binary_opIfEEE10hipError_tPvRmT1_T2_T3_mT4_P12ihipStream_tbEUlT_E1_NS1_11comp_targetILNS1_3genE10ELNS1_11target_archE1201ELNS1_3gpuE5ELNS1_3repE0EEENS1_30default_config_static_selectorELNS0_4arch9wavefront6targetE0EEEvSR_ ; -- Begin function _ZN7rocprim17ROCPRIM_400000_NS6detail17trampoline_kernelINS0_14default_configENS1_22reduce_config_selectorI18summary_stats_dataIfEEEZNS1_11reduce_implILb1ES3_N6thrust23THRUST_200600_302600_NS11hip_rocprim26transform_input_iterator_tIS6_NSA_6detail15normal_iteratorINSA_10device_ptrIfEEEE22summary_stats_unary_opIfEEEPS6_S6_23summary_stats_binary_opIfEEE10hipError_tPvRmT1_T2_T3_mT4_P12ihipStream_tbEUlT_E1_NS1_11comp_targetILNS1_3genE10ELNS1_11target_archE1201ELNS1_3gpuE5ELNS1_3repE0EEENS1_30default_config_static_selectorELNS0_4arch9wavefront6targetE0EEEvSR_
	.globl	_ZN7rocprim17ROCPRIM_400000_NS6detail17trampoline_kernelINS0_14default_configENS1_22reduce_config_selectorI18summary_stats_dataIfEEEZNS1_11reduce_implILb1ES3_N6thrust23THRUST_200600_302600_NS11hip_rocprim26transform_input_iterator_tIS6_NSA_6detail15normal_iteratorINSA_10device_ptrIfEEEE22summary_stats_unary_opIfEEEPS6_S6_23summary_stats_binary_opIfEEE10hipError_tPvRmT1_T2_T3_mT4_P12ihipStream_tbEUlT_E1_NS1_11comp_targetILNS1_3genE10ELNS1_11target_archE1201ELNS1_3gpuE5ELNS1_3repE0EEENS1_30default_config_static_selectorELNS0_4arch9wavefront6targetE0EEEvSR_
	.p2align	8
	.type	_ZN7rocprim17ROCPRIM_400000_NS6detail17trampoline_kernelINS0_14default_configENS1_22reduce_config_selectorI18summary_stats_dataIfEEEZNS1_11reduce_implILb1ES3_N6thrust23THRUST_200600_302600_NS11hip_rocprim26transform_input_iterator_tIS6_NSA_6detail15normal_iteratorINSA_10device_ptrIfEEEE22summary_stats_unary_opIfEEEPS6_S6_23summary_stats_binary_opIfEEE10hipError_tPvRmT1_T2_T3_mT4_P12ihipStream_tbEUlT_E1_NS1_11comp_targetILNS1_3genE10ELNS1_11target_archE1201ELNS1_3gpuE5ELNS1_3repE0EEENS1_30default_config_static_selectorELNS0_4arch9wavefront6targetE0EEEvSR_,@function
_ZN7rocprim17ROCPRIM_400000_NS6detail17trampoline_kernelINS0_14default_configENS1_22reduce_config_selectorI18summary_stats_dataIfEEEZNS1_11reduce_implILb1ES3_N6thrust23THRUST_200600_302600_NS11hip_rocprim26transform_input_iterator_tIS6_NSA_6detail15normal_iteratorINSA_10device_ptrIfEEEE22summary_stats_unary_opIfEEEPS6_S6_23summary_stats_binary_opIfEEE10hipError_tPvRmT1_T2_T3_mT4_P12ihipStream_tbEUlT_E1_NS1_11comp_targetILNS1_3genE10ELNS1_11target_archE1201ELNS1_3gpuE5ELNS1_3repE0EEENS1_30default_config_static_selectorELNS0_4arch9wavefront6targetE0EEEvSR_: ; @_ZN7rocprim17ROCPRIM_400000_NS6detail17trampoline_kernelINS0_14default_configENS1_22reduce_config_selectorI18summary_stats_dataIfEEEZNS1_11reduce_implILb1ES3_N6thrust23THRUST_200600_302600_NS11hip_rocprim26transform_input_iterator_tIS6_NSA_6detail15normal_iteratorINSA_10device_ptrIfEEEE22summary_stats_unary_opIfEEEPS6_S6_23summary_stats_binary_opIfEEE10hipError_tPvRmT1_T2_T3_mT4_P12ihipStream_tbEUlT_E1_NS1_11comp_targetILNS1_3genE10ELNS1_11target_archE1201ELNS1_3gpuE5ELNS1_3repE0EEENS1_30default_config_static_selectorELNS0_4arch9wavefront6targetE0EEEvSR_
; %bb.0:
	.section	.rodata,"a",@progbits
	.p2align	6, 0x0
	.amdhsa_kernel _ZN7rocprim17ROCPRIM_400000_NS6detail17trampoline_kernelINS0_14default_configENS1_22reduce_config_selectorI18summary_stats_dataIfEEEZNS1_11reduce_implILb1ES3_N6thrust23THRUST_200600_302600_NS11hip_rocprim26transform_input_iterator_tIS6_NSA_6detail15normal_iteratorINSA_10device_ptrIfEEEE22summary_stats_unary_opIfEEEPS6_S6_23summary_stats_binary_opIfEEE10hipError_tPvRmT1_T2_T3_mT4_P12ihipStream_tbEUlT_E1_NS1_11comp_targetILNS1_3genE10ELNS1_11target_archE1201ELNS1_3gpuE5ELNS1_3repE0EEENS1_30default_config_static_selectorELNS0_4arch9wavefront6targetE0EEEvSR_
		.amdhsa_group_segment_fixed_size 0
		.amdhsa_private_segment_fixed_size 0
		.amdhsa_kernarg_size 72
		.amdhsa_user_sgpr_count 2
		.amdhsa_user_sgpr_dispatch_ptr 0
		.amdhsa_user_sgpr_queue_ptr 0
		.amdhsa_user_sgpr_kernarg_segment_ptr 1
		.amdhsa_user_sgpr_dispatch_id 0
		.amdhsa_user_sgpr_kernarg_preload_length 0
		.amdhsa_user_sgpr_kernarg_preload_offset 0
		.amdhsa_user_sgpr_private_segment_size 0
		.amdhsa_wavefront_size32 1
		.amdhsa_uses_dynamic_stack 0
		.amdhsa_enable_private_segment 0
		.amdhsa_system_sgpr_workgroup_id_x 1
		.amdhsa_system_sgpr_workgroup_id_y 0
		.amdhsa_system_sgpr_workgroup_id_z 0
		.amdhsa_system_sgpr_workgroup_info 0
		.amdhsa_system_vgpr_workitem_id 0
		.amdhsa_next_free_vgpr 1
		.amdhsa_next_free_sgpr 1
		.amdhsa_named_barrier_count 0
		.amdhsa_reserve_vcc 0
		.amdhsa_float_round_mode_32 0
		.amdhsa_float_round_mode_16_64 0
		.amdhsa_float_denorm_mode_32 3
		.amdhsa_float_denorm_mode_16_64 3
		.amdhsa_fp16_overflow 0
		.amdhsa_memory_ordered 1
		.amdhsa_forward_progress 1
		.amdhsa_inst_pref_size 0
		.amdhsa_round_robin_scheduling 0
		.amdhsa_exception_fp_ieee_invalid_op 0
		.amdhsa_exception_fp_denorm_src 0
		.amdhsa_exception_fp_ieee_div_zero 0
		.amdhsa_exception_fp_ieee_overflow 0
		.amdhsa_exception_fp_ieee_underflow 0
		.amdhsa_exception_fp_ieee_inexact 0
		.amdhsa_exception_int_div_zero 0
	.end_amdhsa_kernel
	.section	.text._ZN7rocprim17ROCPRIM_400000_NS6detail17trampoline_kernelINS0_14default_configENS1_22reduce_config_selectorI18summary_stats_dataIfEEEZNS1_11reduce_implILb1ES3_N6thrust23THRUST_200600_302600_NS11hip_rocprim26transform_input_iterator_tIS6_NSA_6detail15normal_iteratorINSA_10device_ptrIfEEEE22summary_stats_unary_opIfEEEPS6_S6_23summary_stats_binary_opIfEEE10hipError_tPvRmT1_T2_T3_mT4_P12ihipStream_tbEUlT_E1_NS1_11comp_targetILNS1_3genE10ELNS1_11target_archE1201ELNS1_3gpuE5ELNS1_3repE0EEENS1_30default_config_static_selectorELNS0_4arch9wavefront6targetE0EEEvSR_,"axG",@progbits,_ZN7rocprim17ROCPRIM_400000_NS6detail17trampoline_kernelINS0_14default_configENS1_22reduce_config_selectorI18summary_stats_dataIfEEEZNS1_11reduce_implILb1ES3_N6thrust23THRUST_200600_302600_NS11hip_rocprim26transform_input_iterator_tIS6_NSA_6detail15normal_iteratorINSA_10device_ptrIfEEEE22summary_stats_unary_opIfEEEPS6_S6_23summary_stats_binary_opIfEEE10hipError_tPvRmT1_T2_T3_mT4_P12ihipStream_tbEUlT_E1_NS1_11comp_targetILNS1_3genE10ELNS1_11target_archE1201ELNS1_3gpuE5ELNS1_3repE0EEENS1_30default_config_static_selectorELNS0_4arch9wavefront6targetE0EEEvSR_,comdat
.Lfunc_end32:
	.size	_ZN7rocprim17ROCPRIM_400000_NS6detail17trampoline_kernelINS0_14default_configENS1_22reduce_config_selectorI18summary_stats_dataIfEEEZNS1_11reduce_implILb1ES3_N6thrust23THRUST_200600_302600_NS11hip_rocprim26transform_input_iterator_tIS6_NSA_6detail15normal_iteratorINSA_10device_ptrIfEEEE22summary_stats_unary_opIfEEEPS6_S6_23summary_stats_binary_opIfEEE10hipError_tPvRmT1_T2_T3_mT4_P12ihipStream_tbEUlT_E1_NS1_11comp_targetILNS1_3genE10ELNS1_11target_archE1201ELNS1_3gpuE5ELNS1_3repE0EEENS1_30default_config_static_selectorELNS0_4arch9wavefront6targetE0EEEvSR_, .Lfunc_end32-_ZN7rocprim17ROCPRIM_400000_NS6detail17trampoline_kernelINS0_14default_configENS1_22reduce_config_selectorI18summary_stats_dataIfEEEZNS1_11reduce_implILb1ES3_N6thrust23THRUST_200600_302600_NS11hip_rocprim26transform_input_iterator_tIS6_NSA_6detail15normal_iteratorINSA_10device_ptrIfEEEE22summary_stats_unary_opIfEEEPS6_S6_23summary_stats_binary_opIfEEE10hipError_tPvRmT1_T2_T3_mT4_P12ihipStream_tbEUlT_E1_NS1_11comp_targetILNS1_3genE10ELNS1_11target_archE1201ELNS1_3gpuE5ELNS1_3repE0EEENS1_30default_config_static_selectorELNS0_4arch9wavefront6targetE0EEEvSR_
                                        ; -- End function
	.set _ZN7rocprim17ROCPRIM_400000_NS6detail17trampoline_kernelINS0_14default_configENS1_22reduce_config_selectorI18summary_stats_dataIfEEEZNS1_11reduce_implILb1ES3_N6thrust23THRUST_200600_302600_NS11hip_rocprim26transform_input_iterator_tIS6_NSA_6detail15normal_iteratorINSA_10device_ptrIfEEEE22summary_stats_unary_opIfEEEPS6_S6_23summary_stats_binary_opIfEEE10hipError_tPvRmT1_T2_T3_mT4_P12ihipStream_tbEUlT_E1_NS1_11comp_targetILNS1_3genE10ELNS1_11target_archE1201ELNS1_3gpuE5ELNS1_3repE0EEENS1_30default_config_static_selectorELNS0_4arch9wavefront6targetE0EEEvSR_.num_vgpr, 0
	.set _ZN7rocprim17ROCPRIM_400000_NS6detail17trampoline_kernelINS0_14default_configENS1_22reduce_config_selectorI18summary_stats_dataIfEEEZNS1_11reduce_implILb1ES3_N6thrust23THRUST_200600_302600_NS11hip_rocprim26transform_input_iterator_tIS6_NSA_6detail15normal_iteratorINSA_10device_ptrIfEEEE22summary_stats_unary_opIfEEEPS6_S6_23summary_stats_binary_opIfEEE10hipError_tPvRmT1_T2_T3_mT4_P12ihipStream_tbEUlT_E1_NS1_11comp_targetILNS1_3genE10ELNS1_11target_archE1201ELNS1_3gpuE5ELNS1_3repE0EEENS1_30default_config_static_selectorELNS0_4arch9wavefront6targetE0EEEvSR_.num_agpr, 0
	.set _ZN7rocprim17ROCPRIM_400000_NS6detail17trampoline_kernelINS0_14default_configENS1_22reduce_config_selectorI18summary_stats_dataIfEEEZNS1_11reduce_implILb1ES3_N6thrust23THRUST_200600_302600_NS11hip_rocprim26transform_input_iterator_tIS6_NSA_6detail15normal_iteratorINSA_10device_ptrIfEEEE22summary_stats_unary_opIfEEEPS6_S6_23summary_stats_binary_opIfEEE10hipError_tPvRmT1_T2_T3_mT4_P12ihipStream_tbEUlT_E1_NS1_11comp_targetILNS1_3genE10ELNS1_11target_archE1201ELNS1_3gpuE5ELNS1_3repE0EEENS1_30default_config_static_selectorELNS0_4arch9wavefront6targetE0EEEvSR_.numbered_sgpr, 0
	.set _ZN7rocprim17ROCPRIM_400000_NS6detail17trampoline_kernelINS0_14default_configENS1_22reduce_config_selectorI18summary_stats_dataIfEEEZNS1_11reduce_implILb1ES3_N6thrust23THRUST_200600_302600_NS11hip_rocprim26transform_input_iterator_tIS6_NSA_6detail15normal_iteratorINSA_10device_ptrIfEEEE22summary_stats_unary_opIfEEEPS6_S6_23summary_stats_binary_opIfEEE10hipError_tPvRmT1_T2_T3_mT4_P12ihipStream_tbEUlT_E1_NS1_11comp_targetILNS1_3genE10ELNS1_11target_archE1201ELNS1_3gpuE5ELNS1_3repE0EEENS1_30default_config_static_selectorELNS0_4arch9wavefront6targetE0EEEvSR_.num_named_barrier, 0
	.set _ZN7rocprim17ROCPRIM_400000_NS6detail17trampoline_kernelINS0_14default_configENS1_22reduce_config_selectorI18summary_stats_dataIfEEEZNS1_11reduce_implILb1ES3_N6thrust23THRUST_200600_302600_NS11hip_rocprim26transform_input_iterator_tIS6_NSA_6detail15normal_iteratorINSA_10device_ptrIfEEEE22summary_stats_unary_opIfEEEPS6_S6_23summary_stats_binary_opIfEEE10hipError_tPvRmT1_T2_T3_mT4_P12ihipStream_tbEUlT_E1_NS1_11comp_targetILNS1_3genE10ELNS1_11target_archE1201ELNS1_3gpuE5ELNS1_3repE0EEENS1_30default_config_static_selectorELNS0_4arch9wavefront6targetE0EEEvSR_.private_seg_size, 0
	.set _ZN7rocprim17ROCPRIM_400000_NS6detail17trampoline_kernelINS0_14default_configENS1_22reduce_config_selectorI18summary_stats_dataIfEEEZNS1_11reduce_implILb1ES3_N6thrust23THRUST_200600_302600_NS11hip_rocprim26transform_input_iterator_tIS6_NSA_6detail15normal_iteratorINSA_10device_ptrIfEEEE22summary_stats_unary_opIfEEEPS6_S6_23summary_stats_binary_opIfEEE10hipError_tPvRmT1_T2_T3_mT4_P12ihipStream_tbEUlT_E1_NS1_11comp_targetILNS1_3genE10ELNS1_11target_archE1201ELNS1_3gpuE5ELNS1_3repE0EEENS1_30default_config_static_selectorELNS0_4arch9wavefront6targetE0EEEvSR_.uses_vcc, 0
	.set _ZN7rocprim17ROCPRIM_400000_NS6detail17trampoline_kernelINS0_14default_configENS1_22reduce_config_selectorI18summary_stats_dataIfEEEZNS1_11reduce_implILb1ES3_N6thrust23THRUST_200600_302600_NS11hip_rocprim26transform_input_iterator_tIS6_NSA_6detail15normal_iteratorINSA_10device_ptrIfEEEE22summary_stats_unary_opIfEEEPS6_S6_23summary_stats_binary_opIfEEE10hipError_tPvRmT1_T2_T3_mT4_P12ihipStream_tbEUlT_E1_NS1_11comp_targetILNS1_3genE10ELNS1_11target_archE1201ELNS1_3gpuE5ELNS1_3repE0EEENS1_30default_config_static_selectorELNS0_4arch9wavefront6targetE0EEEvSR_.uses_flat_scratch, 0
	.set _ZN7rocprim17ROCPRIM_400000_NS6detail17trampoline_kernelINS0_14default_configENS1_22reduce_config_selectorI18summary_stats_dataIfEEEZNS1_11reduce_implILb1ES3_N6thrust23THRUST_200600_302600_NS11hip_rocprim26transform_input_iterator_tIS6_NSA_6detail15normal_iteratorINSA_10device_ptrIfEEEE22summary_stats_unary_opIfEEEPS6_S6_23summary_stats_binary_opIfEEE10hipError_tPvRmT1_T2_T3_mT4_P12ihipStream_tbEUlT_E1_NS1_11comp_targetILNS1_3genE10ELNS1_11target_archE1201ELNS1_3gpuE5ELNS1_3repE0EEENS1_30default_config_static_selectorELNS0_4arch9wavefront6targetE0EEEvSR_.has_dyn_sized_stack, 0
	.set _ZN7rocprim17ROCPRIM_400000_NS6detail17trampoline_kernelINS0_14default_configENS1_22reduce_config_selectorI18summary_stats_dataIfEEEZNS1_11reduce_implILb1ES3_N6thrust23THRUST_200600_302600_NS11hip_rocprim26transform_input_iterator_tIS6_NSA_6detail15normal_iteratorINSA_10device_ptrIfEEEE22summary_stats_unary_opIfEEEPS6_S6_23summary_stats_binary_opIfEEE10hipError_tPvRmT1_T2_T3_mT4_P12ihipStream_tbEUlT_E1_NS1_11comp_targetILNS1_3genE10ELNS1_11target_archE1201ELNS1_3gpuE5ELNS1_3repE0EEENS1_30default_config_static_selectorELNS0_4arch9wavefront6targetE0EEEvSR_.has_recursion, 0
	.set _ZN7rocprim17ROCPRIM_400000_NS6detail17trampoline_kernelINS0_14default_configENS1_22reduce_config_selectorI18summary_stats_dataIfEEEZNS1_11reduce_implILb1ES3_N6thrust23THRUST_200600_302600_NS11hip_rocprim26transform_input_iterator_tIS6_NSA_6detail15normal_iteratorINSA_10device_ptrIfEEEE22summary_stats_unary_opIfEEEPS6_S6_23summary_stats_binary_opIfEEE10hipError_tPvRmT1_T2_T3_mT4_P12ihipStream_tbEUlT_E1_NS1_11comp_targetILNS1_3genE10ELNS1_11target_archE1201ELNS1_3gpuE5ELNS1_3repE0EEENS1_30default_config_static_selectorELNS0_4arch9wavefront6targetE0EEEvSR_.has_indirect_call, 0
	.section	.AMDGPU.csdata,"",@progbits
; Kernel info:
; codeLenInByte = 0
; TotalNumSgprs: 0
; NumVgprs: 0
; ScratchSize: 0
; MemoryBound: 0
; FloatMode: 240
; IeeeMode: 1
; LDSByteSize: 0 bytes/workgroup (compile time only)
; SGPRBlocks: 0
; VGPRBlocks: 0
; NumSGPRsForWavesPerEU: 1
; NumVGPRsForWavesPerEU: 1
; NamedBarCnt: 0
; Occupancy: 16
; WaveLimiterHint : 0
; COMPUTE_PGM_RSRC2:SCRATCH_EN: 0
; COMPUTE_PGM_RSRC2:USER_SGPR: 2
; COMPUTE_PGM_RSRC2:TRAP_HANDLER: 0
; COMPUTE_PGM_RSRC2:TGID_X_EN: 1
; COMPUTE_PGM_RSRC2:TGID_Y_EN: 0
; COMPUTE_PGM_RSRC2:TGID_Z_EN: 0
; COMPUTE_PGM_RSRC2:TIDIG_COMP_CNT: 0
	.section	.text._ZN7rocprim17ROCPRIM_400000_NS6detail17trampoline_kernelINS0_14default_configENS1_22reduce_config_selectorI18summary_stats_dataIfEEEZNS1_11reduce_implILb1ES3_N6thrust23THRUST_200600_302600_NS11hip_rocprim26transform_input_iterator_tIS6_NSA_6detail15normal_iteratorINSA_10device_ptrIfEEEE22summary_stats_unary_opIfEEEPS6_S6_23summary_stats_binary_opIfEEE10hipError_tPvRmT1_T2_T3_mT4_P12ihipStream_tbEUlT_E1_NS1_11comp_targetILNS1_3genE10ELNS1_11target_archE1200ELNS1_3gpuE4ELNS1_3repE0EEENS1_30default_config_static_selectorELNS0_4arch9wavefront6targetE0EEEvSR_,"axG",@progbits,_ZN7rocprim17ROCPRIM_400000_NS6detail17trampoline_kernelINS0_14default_configENS1_22reduce_config_selectorI18summary_stats_dataIfEEEZNS1_11reduce_implILb1ES3_N6thrust23THRUST_200600_302600_NS11hip_rocprim26transform_input_iterator_tIS6_NSA_6detail15normal_iteratorINSA_10device_ptrIfEEEE22summary_stats_unary_opIfEEEPS6_S6_23summary_stats_binary_opIfEEE10hipError_tPvRmT1_T2_T3_mT4_P12ihipStream_tbEUlT_E1_NS1_11comp_targetILNS1_3genE10ELNS1_11target_archE1200ELNS1_3gpuE4ELNS1_3repE0EEENS1_30default_config_static_selectorELNS0_4arch9wavefront6targetE0EEEvSR_,comdat
	.protected	_ZN7rocprim17ROCPRIM_400000_NS6detail17trampoline_kernelINS0_14default_configENS1_22reduce_config_selectorI18summary_stats_dataIfEEEZNS1_11reduce_implILb1ES3_N6thrust23THRUST_200600_302600_NS11hip_rocprim26transform_input_iterator_tIS6_NSA_6detail15normal_iteratorINSA_10device_ptrIfEEEE22summary_stats_unary_opIfEEEPS6_S6_23summary_stats_binary_opIfEEE10hipError_tPvRmT1_T2_T3_mT4_P12ihipStream_tbEUlT_E1_NS1_11comp_targetILNS1_3genE10ELNS1_11target_archE1200ELNS1_3gpuE4ELNS1_3repE0EEENS1_30default_config_static_selectorELNS0_4arch9wavefront6targetE0EEEvSR_ ; -- Begin function _ZN7rocprim17ROCPRIM_400000_NS6detail17trampoline_kernelINS0_14default_configENS1_22reduce_config_selectorI18summary_stats_dataIfEEEZNS1_11reduce_implILb1ES3_N6thrust23THRUST_200600_302600_NS11hip_rocprim26transform_input_iterator_tIS6_NSA_6detail15normal_iteratorINSA_10device_ptrIfEEEE22summary_stats_unary_opIfEEEPS6_S6_23summary_stats_binary_opIfEEE10hipError_tPvRmT1_T2_T3_mT4_P12ihipStream_tbEUlT_E1_NS1_11comp_targetILNS1_3genE10ELNS1_11target_archE1200ELNS1_3gpuE4ELNS1_3repE0EEENS1_30default_config_static_selectorELNS0_4arch9wavefront6targetE0EEEvSR_
	.globl	_ZN7rocprim17ROCPRIM_400000_NS6detail17trampoline_kernelINS0_14default_configENS1_22reduce_config_selectorI18summary_stats_dataIfEEEZNS1_11reduce_implILb1ES3_N6thrust23THRUST_200600_302600_NS11hip_rocprim26transform_input_iterator_tIS6_NSA_6detail15normal_iteratorINSA_10device_ptrIfEEEE22summary_stats_unary_opIfEEEPS6_S6_23summary_stats_binary_opIfEEE10hipError_tPvRmT1_T2_T3_mT4_P12ihipStream_tbEUlT_E1_NS1_11comp_targetILNS1_3genE10ELNS1_11target_archE1200ELNS1_3gpuE4ELNS1_3repE0EEENS1_30default_config_static_selectorELNS0_4arch9wavefront6targetE0EEEvSR_
	.p2align	8
	.type	_ZN7rocprim17ROCPRIM_400000_NS6detail17trampoline_kernelINS0_14default_configENS1_22reduce_config_selectorI18summary_stats_dataIfEEEZNS1_11reduce_implILb1ES3_N6thrust23THRUST_200600_302600_NS11hip_rocprim26transform_input_iterator_tIS6_NSA_6detail15normal_iteratorINSA_10device_ptrIfEEEE22summary_stats_unary_opIfEEEPS6_S6_23summary_stats_binary_opIfEEE10hipError_tPvRmT1_T2_T3_mT4_P12ihipStream_tbEUlT_E1_NS1_11comp_targetILNS1_3genE10ELNS1_11target_archE1200ELNS1_3gpuE4ELNS1_3repE0EEENS1_30default_config_static_selectorELNS0_4arch9wavefront6targetE0EEEvSR_,@function
_ZN7rocprim17ROCPRIM_400000_NS6detail17trampoline_kernelINS0_14default_configENS1_22reduce_config_selectorI18summary_stats_dataIfEEEZNS1_11reduce_implILb1ES3_N6thrust23THRUST_200600_302600_NS11hip_rocprim26transform_input_iterator_tIS6_NSA_6detail15normal_iteratorINSA_10device_ptrIfEEEE22summary_stats_unary_opIfEEEPS6_S6_23summary_stats_binary_opIfEEE10hipError_tPvRmT1_T2_T3_mT4_P12ihipStream_tbEUlT_E1_NS1_11comp_targetILNS1_3genE10ELNS1_11target_archE1200ELNS1_3gpuE4ELNS1_3repE0EEENS1_30default_config_static_selectorELNS0_4arch9wavefront6targetE0EEEvSR_: ; @_ZN7rocprim17ROCPRIM_400000_NS6detail17trampoline_kernelINS0_14default_configENS1_22reduce_config_selectorI18summary_stats_dataIfEEEZNS1_11reduce_implILb1ES3_N6thrust23THRUST_200600_302600_NS11hip_rocprim26transform_input_iterator_tIS6_NSA_6detail15normal_iteratorINSA_10device_ptrIfEEEE22summary_stats_unary_opIfEEEPS6_S6_23summary_stats_binary_opIfEEE10hipError_tPvRmT1_T2_T3_mT4_P12ihipStream_tbEUlT_E1_NS1_11comp_targetILNS1_3genE10ELNS1_11target_archE1200ELNS1_3gpuE4ELNS1_3repE0EEENS1_30default_config_static_selectorELNS0_4arch9wavefront6targetE0EEEvSR_
; %bb.0:
	.section	.rodata,"a",@progbits
	.p2align	6, 0x0
	.amdhsa_kernel _ZN7rocprim17ROCPRIM_400000_NS6detail17trampoline_kernelINS0_14default_configENS1_22reduce_config_selectorI18summary_stats_dataIfEEEZNS1_11reduce_implILb1ES3_N6thrust23THRUST_200600_302600_NS11hip_rocprim26transform_input_iterator_tIS6_NSA_6detail15normal_iteratorINSA_10device_ptrIfEEEE22summary_stats_unary_opIfEEEPS6_S6_23summary_stats_binary_opIfEEE10hipError_tPvRmT1_T2_T3_mT4_P12ihipStream_tbEUlT_E1_NS1_11comp_targetILNS1_3genE10ELNS1_11target_archE1200ELNS1_3gpuE4ELNS1_3repE0EEENS1_30default_config_static_selectorELNS0_4arch9wavefront6targetE0EEEvSR_
		.amdhsa_group_segment_fixed_size 0
		.amdhsa_private_segment_fixed_size 0
		.amdhsa_kernarg_size 72
		.amdhsa_user_sgpr_count 2
		.amdhsa_user_sgpr_dispatch_ptr 0
		.amdhsa_user_sgpr_queue_ptr 0
		.amdhsa_user_sgpr_kernarg_segment_ptr 1
		.amdhsa_user_sgpr_dispatch_id 0
		.amdhsa_user_sgpr_kernarg_preload_length 0
		.amdhsa_user_sgpr_kernarg_preload_offset 0
		.amdhsa_user_sgpr_private_segment_size 0
		.amdhsa_wavefront_size32 1
		.amdhsa_uses_dynamic_stack 0
		.amdhsa_enable_private_segment 0
		.amdhsa_system_sgpr_workgroup_id_x 1
		.amdhsa_system_sgpr_workgroup_id_y 0
		.amdhsa_system_sgpr_workgroup_id_z 0
		.amdhsa_system_sgpr_workgroup_info 0
		.amdhsa_system_vgpr_workitem_id 0
		.amdhsa_next_free_vgpr 1
		.amdhsa_next_free_sgpr 1
		.amdhsa_named_barrier_count 0
		.amdhsa_reserve_vcc 0
		.amdhsa_float_round_mode_32 0
		.amdhsa_float_round_mode_16_64 0
		.amdhsa_float_denorm_mode_32 3
		.amdhsa_float_denorm_mode_16_64 3
		.amdhsa_fp16_overflow 0
		.amdhsa_memory_ordered 1
		.amdhsa_forward_progress 1
		.amdhsa_inst_pref_size 0
		.amdhsa_round_robin_scheduling 0
		.amdhsa_exception_fp_ieee_invalid_op 0
		.amdhsa_exception_fp_denorm_src 0
		.amdhsa_exception_fp_ieee_div_zero 0
		.amdhsa_exception_fp_ieee_overflow 0
		.amdhsa_exception_fp_ieee_underflow 0
		.amdhsa_exception_fp_ieee_inexact 0
		.amdhsa_exception_int_div_zero 0
	.end_amdhsa_kernel
	.section	.text._ZN7rocprim17ROCPRIM_400000_NS6detail17trampoline_kernelINS0_14default_configENS1_22reduce_config_selectorI18summary_stats_dataIfEEEZNS1_11reduce_implILb1ES3_N6thrust23THRUST_200600_302600_NS11hip_rocprim26transform_input_iterator_tIS6_NSA_6detail15normal_iteratorINSA_10device_ptrIfEEEE22summary_stats_unary_opIfEEEPS6_S6_23summary_stats_binary_opIfEEE10hipError_tPvRmT1_T2_T3_mT4_P12ihipStream_tbEUlT_E1_NS1_11comp_targetILNS1_3genE10ELNS1_11target_archE1200ELNS1_3gpuE4ELNS1_3repE0EEENS1_30default_config_static_selectorELNS0_4arch9wavefront6targetE0EEEvSR_,"axG",@progbits,_ZN7rocprim17ROCPRIM_400000_NS6detail17trampoline_kernelINS0_14default_configENS1_22reduce_config_selectorI18summary_stats_dataIfEEEZNS1_11reduce_implILb1ES3_N6thrust23THRUST_200600_302600_NS11hip_rocprim26transform_input_iterator_tIS6_NSA_6detail15normal_iteratorINSA_10device_ptrIfEEEE22summary_stats_unary_opIfEEEPS6_S6_23summary_stats_binary_opIfEEE10hipError_tPvRmT1_T2_T3_mT4_P12ihipStream_tbEUlT_E1_NS1_11comp_targetILNS1_3genE10ELNS1_11target_archE1200ELNS1_3gpuE4ELNS1_3repE0EEENS1_30default_config_static_selectorELNS0_4arch9wavefront6targetE0EEEvSR_,comdat
.Lfunc_end33:
	.size	_ZN7rocprim17ROCPRIM_400000_NS6detail17trampoline_kernelINS0_14default_configENS1_22reduce_config_selectorI18summary_stats_dataIfEEEZNS1_11reduce_implILb1ES3_N6thrust23THRUST_200600_302600_NS11hip_rocprim26transform_input_iterator_tIS6_NSA_6detail15normal_iteratorINSA_10device_ptrIfEEEE22summary_stats_unary_opIfEEEPS6_S6_23summary_stats_binary_opIfEEE10hipError_tPvRmT1_T2_T3_mT4_P12ihipStream_tbEUlT_E1_NS1_11comp_targetILNS1_3genE10ELNS1_11target_archE1200ELNS1_3gpuE4ELNS1_3repE0EEENS1_30default_config_static_selectorELNS0_4arch9wavefront6targetE0EEEvSR_, .Lfunc_end33-_ZN7rocprim17ROCPRIM_400000_NS6detail17trampoline_kernelINS0_14default_configENS1_22reduce_config_selectorI18summary_stats_dataIfEEEZNS1_11reduce_implILb1ES3_N6thrust23THRUST_200600_302600_NS11hip_rocprim26transform_input_iterator_tIS6_NSA_6detail15normal_iteratorINSA_10device_ptrIfEEEE22summary_stats_unary_opIfEEEPS6_S6_23summary_stats_binary_opIfEEE10hipError_tPvRmT1_T2_T3_mT4_P12ihipStream_tbEUlT_E1_NS1_11comp_targetILNS1_3genE10ELNS1_11target_archE1200ELNS1_3gpuE4ELNS1_3repE0EEENS1_30default_config_static_selectorELNS0_4arch9wavefront6targetE0EEEvSR_
                                        ; -- End function
	.set _ZN7rocprim17ROCPRIM_400000_NS6detail17trampoline_kernelINS0_14default_configENS1_22reduce_config_selectorI18summary_stats_dataIfEEEZNS1_11reduce_implILb1ES3_N6thrust23THRUST_200600_302600_NS11hip_rocprim26transform_input_iterator_tIS6_NSA_6detail15normal_iteratorINSA_10device_ptrIfEEEE22summary_stats_unary_opIfEEEPS6_S6_23summary_stats_binary_opIfEEE10hipError_tPvRmT1_T2_T3_mT4_P12ihipStream_tbEUlT_E1_NS1_11comp_targetILNS1_3genE10ELNS1_11target_archE1200ELNS1_3gpuE4ELNS1_3repE0EEENS1_30default_config_static_selectorELNS0_4arch9wavefront6targetE0EEEvSR_.num_vgpr, 0
	.set _ZN7rocprim17ROCPRIM_400000_NS6detail17trampoline_kernelINS0_14default_configENS1_22reduce_config_selectorI18summary_stats_dataIfEEEZNS1_11reduce_implILb1ES3_N6thrust23THRUST_200600_302600_NS11hip_rocprim26transform_input_iterator_tIS6_NSA_6detail15normal_iteratorINSA_10device_ptrIfEEEE22summary_stats_unary_opIfEEEPS6_S6_23summary_stats_binary_opIfEEE10hipError_tPvRmT1_T2_T3_mT4_P12ihipStream_tbEUlT_E1_NS1_11comp_targetILNS1_3genE10ELNS1_11target_archE1200ELNS1_3gpuE4ELNS1_3repE0EEENS1_30default_config_static_selectorELNS0_4arch9wavefront6targetE0EEEvSR_.num_agpr, 0
	.set _ZN7rocprim17ROCPRIM_400000_NS6detail17trampoline_kernelINS0_14default_configENS1_22reduce_config_selectorI18summary_stats_dataIfEEEZNS1_11reduce_implILb1ES3_N6thrust23THRUST_200600_302600_NS11hip_rocprim26transform_input_iterator_tIS6_NSA_6detail15normal_iteratorINSA_10device_ptrIfEEEE22summary_stats_unary_opIfEEEPS6_S6_23summary_stats_binary_opIfEEE10hipError_tPvRmT1_T2_T3_mT4_P12ihipStream_tbEUlT_E1_NS1_11comp_targetILNS1_3genE10ELNS1_11target_archE1200ELNS1_3gpuE4ELNS1_3repE0EEENS1_30default_config_static_selectorELNS0_4arch9wavefront6targetE0EEEvSR_.numbered_sgpr, 0
	.set _ZN7rocprim17ROCPRIM_400000_NS6detail17trampoline_kernelINS0_14default_configENS1_22reduce_config_selectorI18summary_stats_dataIfEEEZNS1_11reduce_implILb1ES3_N6thrust23THRUST_200600_302600_NS11hip_rocprim26transform_input_iterator_tIS6_NSA_6detail15normal_iteratorINSA_10device_ptrIfEEEE22summary_stats_unary_opIfEEEPS6_S6_23summary_stats_binary_opIfEEE10hipError_tPvRmT1_T2_T3_mT4_P12ihipStream_tbEUlT_E1_NS1_11comp_targetILNS1_3genE10ELNS1_11target_archE1200ELNS1_3gpuE4ELNS1_3repE0EEENS1_30default_config_static_selectorELNS0_4arch9wavefront6targetE0EEEvSR_.num_named_barrier, 0
	.set _ZN7rocprim17ROCPRIM_400000_NS6detail17trampoline_kernelINS0_14default_configENS1_22reduce_config_selectorI18summary_stats_dataIfEEEZNS1_11reduce_implILb1ES3_N6thrust23THRUST_200600_302600_NS11hip_rocprim26transform_input_iterator_tIS6_NSA_6detail15normal_iteratorINSA_10device_ptrIfEEEE22summary_stats_unary_opIfEEEPS6_S6_23summary_stats_binary_opIfEEE10hipError_tPvRmT1_T2_T3_mT4_P12ihipStream_tbEUlT_E1_NS1_11comp_targetILNS1_3genE10ELNS1_11target_archE1200ELNS1_3gpuE4ELNS1_3repE0EEENS1_30default_config_static_selectorELNS0_4arch9wavefront6targetE0EEEvSR_.private_seg_size, 0
	.set _ZN7rocprim17ROCPRIM_400000_NS6detail17trampoline_kernelINS0_14default_configENS1_22reduce_config_selectorI18summary_stats_dataIfEEEZNS1_11reduce_implILb1ES3_N6thrust23THRUST_200600_302600_NS11hip_rocprim26transform_input_iterator_tIS6_NSA_6detail15normal_iteratorINSA_10device_ptrIfEEEE22summary_stats_unary_opIfEEEPS6_S6_23summary_stats_binary_opIfEEE10hipError_tPvRmT1_T2_T3_mT4_P12ihipStream_tbEUlT_E1_NS1_11comp_targetILNS1_3genE10ELNS1_11target_archE1200ELNS1_3gpuE4ELNS1_3repE0EEENS1_30default_config_static_selectorELNS0_4arch9wavefront6targetE0EEEvSR_.uses_vcc, 0
	.set _ZN7rocprim17ROCPRIM_400000_NS6detail17trampoline_kernelINS0_14default_configENS1_22reduce_config_selectorI18summary_stats_dataIfEEEZNS1_11reduce_implILb1ES3_N6thrust23THRUST_200600_302600_NS11hip_rocprim26transform_input_iterator_tIS6_NSA_6detail15normal_iteratorINSA_10device_ptrIfEEEE22summary_stats_unary_opIfEEEPS6_S6_23summary_stats_binary_opIfEEE10hipError_tPvRmT1_T2_T3_mT4_P12ihipStream_tbEUlT_E1_NS1_11comp_targetILNS1_3genE10ELNS1_11target_archE1200ELNS1_3gpuE4ELNS1_3repE0EEENS1_30default_config_static_selectorELNS0_4arch9wavefront6targetE0EEEvSR_.uses_flat_scratch, 0
	.set _ZN7rocprim17ROCPRIM_400000_NS6detail17trampoline_kernelINS0_14default_configENS1_22reduce_config_selectorI18summary_stats_dataIfEEEZNS1_11reduce_implILb1ES3_N6thrust23THRUST_200600_302600_NS11hip_rocprim26transform_input_iterator_tIS6_NSA_6detail15normal_iteratorINSA_10device_ptrIfEEEE22summary_stats_unary_opIfEEEPS6_S6_23summary_stats_binary_opIfEEE10hipError_tPvRmT1_T2_T3_mT4_P12ihipStream_tbEUlT_E1_NS1_11comp_targetILNS1_3genE10ELNS1_11target_archE1200ELNS1_3gpuE4ELNS1_3repE0EEENS1_30default_config_static_selectorELNS0_4arch9wavefront6targetE0EEEvSR_.has_dyn_sized_stack, 0
	.set _ZN7rocprim17ROCPRIM_400000_NS6detail17trampoline_kernelINS0_14default_configENS1_22reduce_config_selectorI18summary_stats_dataIfEEEZNS1_11reduce_implILb1ES3_N6thrust23THRUST_200600_302600_NS11hip_rocprim26transform_input_iterator_tIS6_NSA_6detail15normal_iteratorINSA_10device_ptrIfEEEE22summary_stats_unary_opIfEEEPS6_S6_23summary_stats_binary_opIfEEE10hipError_tPvRmT1_T2_T3_mT4_P12ihipStream_tbEUlT_E1_NS1_11comp_targetILNS1_3genE10ELNS1_11target_archE1200ELNS1_3gpuE4ELNS1_3repE0EEENS1_30default_config_static_selectorELNS0_4arch9wavefront6targetE0EEEvSR_.has_recursion, 0
	.set _ZN7rocprim17ROCPRIM_400000_NS6detail17trampoline_kernelINS0_14default_configENS1_22reduce_config_selectorI18summary_stats_dataIfEEEZNS1_11reduce_implILb1ES3_N6thrust23THRUST_200600_302600_NS11hip_rocprim26transform_input_iterator_tIS6_NSA_6detail15normal_iteratorINSA_10device_ptrIfEEEE22summary_stats_unary_opIfEEEPS6_S6_23summary_stats_binary_opIfEEE10hipError_tPvRmT1_T2_T3_mT4_P12ihipStream_tbEUlT_E1_NS1_11comp_targetILNS1_3genE10ELNS1_11target_archE1200ELNS1_3gpuE4ELNS1_3repE0EEENS1_30default_config_static_selectorELNS0_4arch9wavefront6targetE0EEEvSR_.has_indirect_call, 0
	.section	.AMDGPU.csdata,"",@progbits
; Kernel info:
; codeLenInByte = 0
; TotalNumSgprs: 0
; NumVgprs: 0
; ScratchSize: 0
; MemoryBound: 0
; FloatMode: 240
; IeeeMode: 1
; LDSByteSize: 0 bytes/workgroup (compile time only)
; SGPRBlocks: 0
; VGPRBlocks: 0
; NumSGPRsForWavesPerEU: 1
; NumVGPRsForWavesPerEU: 1
; NamedBarCnt: 0
; Occupancy: 16
; WaveLimiterHint : 0
; COMPUTE_PGM_RSRC2:SCRATCH_EN: 0
; COMPUTE_PGM_RSRC2:USER_SGPR: 2
; COMPUTE_PGM_RSRC2:TRAP_HANDLER: 0
; COMPUTE_PGM_RSRC2:TGID_X_EN: 1
; COMPUTE_PGM_RSRC2:TGID_Y_EN: 0
; COMPUTE_PGM_RSRC2:TGID_Z_EN: 0
; COMPUTE_PGM_RSRC2:TIDIG_COMP_CNT: 0
	.section	.text._ZN7rocprim17ROCPRIM_400000_NS6detail17trampoline_kernelINS0_14default_configENS1_22reduce_config_selectorI18summary_stats_dataIfEEEZNS1_11reduce_implILb1ES3_N6thrust23THRUST_200600_302600_NS11hip_rocprim26transform_input_iterator_tIS6_NSA_6detail15normal_iteratorINSA_10device_ptrIfEEEE22summary_stats_unary_opIfEEEPS6_S6_23summary_stats_binary_opIfEEE10hipError_tPvRmT1_T2_T3_mT4_P12ihipStream_tbEUlT_E1_NS1_11comp_targetILNS1_3genE9ELNS1_11target_archE1100ELNS1_3gpuE3ELNS1_3repE0EEENS1_30default_config_static_selectorELNS0_4arch9wavefront6targetE0EEEvSR_,"axG",@progbits,_ZN7rocprim17ROCPRIM_400000_NS6detail17trampoline_kernelINS0_14default_configENS1_22reduce_config_selectorI18summary_stats_dataIfEEEZNS1_11reduce_implILb1ES3_N6thrust23THRUST_200600_302600_NS11hip_rocprim26transform_input_iterator_tIS6_NSA_6detail15normal_iteratorINSA_10device_ptrIfEEEE22summary_stats_unary_opIfEEEPS6_S6_23summary_stats_binary_opIfEEE10hipError_tPvRmT1_T2_T3_mT4_P12ihipStream_tbEUlT_E1_NS1_11comp_targetILNS1_3genE9ELNS1_11target_archE1100ELNS1_3gpuE3ELNS1_3repE0EEENS1_30default_config_static_selectorELNS0_4arch9wavefront6targetE0EEEvSR_,comdat
	.protected	_ZN7rocprim17ROCPRIM_400000_NS6detail17trampoline_kernelINS0_14default_configENS1_22reduce_config_selectorI18summary_stats_dataIfEEEZNS1_11reduce_implILb1ES3_N6thrust23THRUST_200600_302600_NS11hip_rocprim26transform_input_iterator_tIS6_NSA_6detail15normal_iteratorINSA_10device_ptrIfEEEE22summary_stats_unary_opIfEEEPS6_S6_23summary_stats_binary_opIfEEE10hipError_tPvRmT1_T2_T3_mT4_P12ihipStream_tbEUlT_E1_NS1_11comp_targetILNS1_3genE9ELNS1_11target_archE1100ELNS1_3gpuE3ELNS1_3repE0EEENS1_30default_config_static_selectorELNS0_4arch9wavefront6targetE0EEEvSR_ ; -- Begin function _ZN7rocprim17ROCPRIM_400000_NS6detail17trampoline_kernelINS0_14default_configENS1_22reduce_config_selectorI18summary_stats_dataIfEEEZNS1_11reduce_implILb1ES3_N6thrust23THRUST_200600_302600_NS11hip_rocprim26transform_input_iterator_tIS6_NSA_6detail15normal_iteratorINSA_10device_ptrIfEEEE22summary_stats_unary_opIfEEEPS6_S6_23summary_stats_binary_opIfEEE10hipError_tPvRmT1_T2_T3_mT4_P12ihipStream_tbEUlT_E1_NS1_11comp_targetILNS1_3genE9ELNS1_11target_archE1100ELNS1_3gpuE3ELNS1_3repE0EEENS1_30default_config_static_selectorELNS0_4arch9wavefront6targetE0EEEvSR_
	.globl	_ZN7rocprim17ROCPRIM_400000_NS6detail17trampoline_kernelINS0_14default_configENS1_22reduce_config_selectorI18summary_stats_dataIfEEEZNS1_11reduce_implILb1ES3_N6thrust23THRUST_200600_302600_NS11hip_rocprim26transform_input_iterator_tIS6_NSA_6detail15normal_iteratorINSA_10device_ptrIfEEEE22summary_stats_unary_opIfEEEPS6_S6_23summary_stats_binary_opIfEEE10hipError_tPvRmT1_T2_T3_mT4_P12ihipStream_tbEUlT_E1_NS1_11comp_targetILNS1_3genE9ELNS1_11target_archE1100ELNS1_3gpuE3ELNS1_3repE0EEENS1_30default_config_static_selectorELNS0_4arch9wavefront6targetE0EEEvSR_
	.p2align	8
	.type	_ZN7rocprim17ROCPRIM_400000_NS6detail17trampoline_kernelINS0_14default_configENS1_22reduce_config_selectorI18summary_stats_dataIfEEEZNS1_11reduce_implILb1ES3_N6thrust23THRUST_200600_302600_NS11hip_rocprim26transform_input_iterator_tIS6_NSA_6detail15normal_iteratorINSA_10device_ptrIfEEEE22summary_stats_unary_opIfEEEPS6_S6_23summary_stats_binary_opIfEEE10hipError_tPvRmT1_T2_T3_mT4_P12ihipStream_tbEUlT_E1_NS1_11comp_targetILNS1_3genE9ELNS1_11target_archE1100ELNS1_3gpuE3ELNS1_3repE0EEENS1_30default_config_static_selectorELNS0_4arch9wavefront6targetE0EEEvSR_,@function
_ZN7rocprim17ROCPRIM_400000_NS6detail17trampoline_kernelINS0_14default_configENS1_22reduce_config_selectorI18summary_stats_dataIfEEEZNS1_11reduce_implILb1ES3_N6thrust23THRUST_200600_302600_NS11hip_rocprim26transform_input_iterator_tIS6_NSA_6detail15normal_iteratorINSA_10device_ptrIfEEEE22summary_stats_unary_opIfEEEPS6_S6_23summary_stats_binary_opIfEEE10hipError_tPvRmT1_T2_T3_mT4_P12ihipStream_tbEUlT_E1_NS1_11comp_targetILNS1_3genE9ELNS1_11target_archE1100ELNS1_3gpuE3ELNS1_3repE0EEENS1_30default_config_static_selectorELNS0_4arch9wavefront6targetE0EEEvSR_: ; @_ZN7rocprim17ROCPRIM_400000_NS6detail17trampoline_kernelINS0_14default_configENS1_22reduce_config_selectorI18summary_stats_dataIfEEEZNS1_11reduce_implILb1ES3_N6thrust23THRUST_200600_302600_NS11hip_rocprim26transform_input_iterator_tIS6_NSA_6detail15normal_iteratorINSA_10device_ptrIfEEEE22summary_stats_unary_opIfEEEPS6_S6_23summary_stats_binary_opIfEEE10hipError_tPvRmT1_T2_T3_mT4_P12ihipStream_tbEUlT_E1_NS1_11comp_targetILNS1_3genE9ELNS1_11target_archE1100ELNS1_3gpuE3ELNS1_3repE0EEENS1_30default_config_static_selectorELNS0_4arch9wavefront6targetE0EEEvSR_
; %bb.0:
	.section	.rodata,"a",@progbits
	.p2align	6, 0x0
	.amdhsa_kernel _ZN7rocprim17ROCPRIM_400000_NS6detail17trampoline_kernelINS0_14default_configENS1_22reduce_config_selectorI18summary_stats_dataIfEEEZNS1_11reduce_implILb1ES3_N6thrust23THRUST_200600_302600_NS11hip_rocprim26transform_input_iterator_tIS6_NSA_6detail15normal_iteratorINSA_10device_ptrIfEEEE22summary_stats_unary_opIfEEEPS6_S6_23summary_stats_binary_opIfEEE10hipError_tPvRmT1_T2_T3_mT4_P12ihipStream_tbEUlT_E1_NS1_11comp_targetILNS1_3genE9ELNS1_11target_archE1100ELNS1_3gpuE3ELNS1_3repE0EEENS1_30default_config_static_selectorELNS0_4arch9wavefront6targetE0EEEvSR_
		.amdhsa_group_segment_fixed_size 0
		.amdhsa_private_segment_fixed_size 0
		.amdhsa_kernarg_size 72
		.amdhsa_user_sgpr_count 2
		.amdhsa_user_sgpr_dispatch_ptr 0
		.amdhsa_user_sgpr_queue_ptr 0
		.amdhsa_user_sgpr_kernarg_segment_ptr 1
		.amdhsa_user_sgpr_dispatch_id 0
		.amdhsa_user_sgpr_kernarg_preload_length 0
		.amdhsa_user_sgpr_kernarg_preload_offset 0
		.amdhsa_user_sgpr_private_segment_size 0
		.amdhsa_wavefront_size32 1
		.amdhsa_uses_dynamic_stack 0
		.amdhsa_enable_private_segment 0
		.amdhsa_system_sgpr_workgroup_id_x 1
		.amdhsa_system_sgpr_workgroup_id_y 0
		.amdhsa_system_sgpr_workgroup_id_z 0
		.amdhsa_system_sgpr_workgroup_info 0
		.amdhsa_system_vgpr_workitem_id 0
		.amdhsa_next_free_vgpr 1
		.amdhsa_next_free_sgpr 1
		.amdhsa_named_barrier_count 0
		.amdhsa_reserve_vcc 0
		.amdhsa_float_round_mode_32 0
		.amdhsa_float_round_mode_16_64 0
		.amdhsa_float_denorm_mode_32 3
		.amdhsa_float_denorm_mode_16_64 3
		.amdhsa_fp16_overflow 0
		.amdhsa_memory_ordered 1
		.amdhsa_forward_progress 1
		.amdhsa_inst_pref_size 0
		.amdhsa_round_robin_scheduling 0
		.amdhsa_exception_fp_ieee_invalid_op 0
		.amdhsa_exception_fp_denorm_src 0
		.amdhsa_exception_fp_ieee_div_zero 0
		.amdhsa_exception_fp_ieee_overflow 0
		.amdhsa_exception_fp_ieee_underflow 0
		.amdhsa_exception_fp_ieee_inexact 0
		.amdhsa_exception_int_div_zero 0
	.end_amdhsa_kernel
	.section	.text._ZN7rocprim17ROCPRIM_400000_NS6detail17trampoline_kernelINS0_14default_configENS1_22reduce_config_selectorI18summary_stats_dataIfEEEZNS1_11reduce_implILb1ES3_N6thrust23THRUST_200600_302600_NS11hip_rocprim26transform_input_iterator_tIS6_NSA_6detail15normal_iteratorINSA_10device_ptrIfEEEE22summary_stats_unary_opIfEEEPS6_S6_23summary_stats_binary_opIfEEE10hipError_tPvRmT1_T2_T3_mT4_P12ihipStream_tbEUlT_E1_NS1_11comp_targetILNS1_3genE9ELNS1_11target_archE1100ELNS1_3gpuE3ELNS1_3repE0EEENS1_30default_config_static_selectorELNS0_4arch9wavefront6targetE0EEEvSR_,"axG",@progbits,_ZN7rocprim17ROCPRIM_400000_NS6detail17trampoline_kernelINS0_14default_configENS1_22reduce_config_selectorI18summary_stats_dataIfEEEZNS1_11reduce_implILb1ES3_N6thrust23THRUST_200600_302600_NS11hip_rocprim26transform_input_iterator_tIS6_NSA_6detail15normal_iteratorINSA_10device_ptrIfEEEE22summary_stats_unary_opIfEEEPS6_S6_23summary_stats_binary_opIfEEE10hipError_tPvRmT1_T2_T3_mT4_P12ihipStream_tbEUlT_E1_NS1_11comp_targetILNS1_3genE9ELNS1_11target_archE1100ELNS1_3gpuE3ELNS1_3repE0EEENS1_30default_config_static_selectorELNS0_4arch9wavefront6targetE0EEEvSR_,comdat
.Lfunc_end34:
	.size	_ZN7rocprim17ROCPRIM_400000_NS6detail17trampoline_kernelINS0_14default_configENS1_22reduce_config_selectorI18summary_stats_dataIfEEEZNS1_11reduce_implILb1ES3_N6thrust23THRUST_200600_302600_NS11hip_rocprim26transform_input_iterator_tIS6_NSA_6detail15normal_iteratorINSA_10device_ptrIfEEEE22summary_stats_unary_opIfEEEPS6_S6_23summary_stats_binary_opIfEEE10hipError_tPvRmT1_T2_T3_mT4_P12ihipStream_tbEUlT_E1_NS1_11comp_targetILNS1_3genE9ELNS1_11target_archE1100ELNS1_3gpuE3ELNS1_3repE0EEENS1_30default_config_static_selectorELNS0_4arch9wavefront6targetE0EEEvSR_, .Lfunc_end34-_ZN7rocprim17ROCPRIM_400000_NS6detail17trampoline_kernelINS0_14default_configENS1_22reduce_config_selectorI18summary_stats_dataIfEEEZNS1_11reduce_implILb1ES3_N6thrust23THRUST_200600_302600_NS11hip_rocprim26transform_input_iterator_tIS6_NSA_6detail15normal_iteratorINSA_10device_ptrIfEEEE22summary_stats_unary_opIfEEEPS6_S6_23summary_stats_binary_opIfEEE10hipError_tPvRmT1_T2_T3_mT4_P12ihipStream_tbEUlT_E1_NS1_11comp_targetILNS1_3genE9ELNS1_11target_archE1100ELNS1_3gpuE3ELNS1_3repE0EEENS1_30default_config_static_selectorELNS0_4arch9wavefront6targetE0EEEvSR_
                                        ; -- End function
	.set _ZN7rocprim17ROCPRIM_400000_NS6detail17trampoline_kernelINS0_14default_configENS1_22reduce_config_selectorI18summary_stats_dataIfEEEZNS1_11reduce_implILb1ES3_N6thrust23THRUST_200600_302600_NS11hip_rocprim26transform_input_iterator_tIS6_NSA_6detail15normal_iteratorINSA_10device_ptrIfEEEE22summary_stats_unary_opIfEEEPS6_S6_23summary_stats_binary_opIfEEE10hipError_tPvRmT1_T2_T3_mT4_P12ihipStream_tbEUlT_E1_NS1_11comp_targetILNS1_3genE9ELNS1_11target_archE1100ELNS1_3gpuE3ELNS1_3repE0EEENS1_30default_config_static_selectorELNS0_4arch9wavefront6targetE0EEEvSR_.num_vgpr, 0
	.set _ZN7rocprim17ROCPRIM_400000_NS6detail17trampoline_kernelINS0_14default_configENS1_22reduce_config_selectorI18summary_stats_dataIfEEEZNS1_11reduce_implILb1ES3_N6thrust23THRUST_200600_302600_NS11hip_rocprim26transform_input_iterator_tIS6_NSA_6detail15normal_iteratorINSA_10device_ptrIfEEEE22summary_stats_unary_opIfEEEPS6_S6_23summary_stats_binary_opIfEEE10hipError_tPvRmT1_T2_T3_mT4_P12ihipStream_tbEUlT_E1_NS1_11comp_targetILNS1_3genE9ELNS1_11target_archE1100ELNS1_3gpuE3ELNS1_3repE0EEENS1_30default_config_static_selectorELNS0_4arch9wavefront6targetE0EEEvSR_.num_agpr, 0
	.set _ZN7rocprim17ROCPRIM_400000_NS6detail17trampoline_kernelINS0_14default_configENS1_22reduce_config_selectorI18summary_stats_dataIfEEEZNS1_11reduce_implILb1ES3_N6thrust23THRUST_200600_302600_NS11hip_rocprim26transform_input_iterator_tIS6_NSA_6detail15normal_iteratorINSA_10device_ptrIfEEEE22summary_stats_unary_opIfEEEPS6_S6_23summary_stats_binary_opIfEEE10hipError_tPvRmT1_T2_T3_mT4_P12ihipStream_tbEUlT_E1_NS1_11comp_targetILNS1_3genE9ELNS1_11target_archE1100ELNS1_3gpuE3ELNS1_3repE0EEENS1_30default_config_static_selectorELNS0_4arch9wavefront6targetE0EEEvSR_.numbered_sgpr, 0
	.set _ZN7rocprim17ROCPRIM_400000_NS6detail17trampoline_kernelINS0_14default_configENS1_22reduce_config_selectorI18summary_stats_dataIfEEEZNS1_11reduce_implILb1ES3_N6thrust23THRUST_200600_302600_NS11hip_rocprim26transform_input_iterator_tIS6_NSA_6detail15normal_iteratorINSA_10device_ptrIfEEEE22summary_stats_unary_opIfEEEPS6_S6_23summary_stats_binary_opIfEEE10hipError_tPvRmT1_T2_T3_mT4_P12ihipStream_tbEUlT_E1_NS1_11comp_targetILNS1_3genE9ELNS1_11target_archE1100ELNS1_3gpuE3ELNS1_3repE0EEENS1_30default_config_static_selectorELNS0_4arch9wavefront6targetE0EEEvSR_.num_named_barrier, 0
	.set _ZN7rocprim17ROCPRIM_400000_NS6detail17trampoline_kernelINS0_14default_configENS1_22reduce_config_selectorI18summary_stats_dataIfEEEZNS1_11reduce_implILb1ES3_N6thrust23THRUST_200600_302600_NS11hip_rocprim26transform_input_iterator_tIS6_NSA_6detail15normal_iteratorINSA_10device_ptrIfEEEE22summary_stats_unary_opIfEEEPS6_S6_23summary_stats_binary_opIfEEE10hipError_tPvRmT1_T2_T3_mT4_P12ihipStream_tbEUlT_E1_NS1_11comp_targetILNS1_3genE9ELNS1_11target_archE1100ELNS1_3gpuE3ELNS1_3repE0EEENS1_30default_config_static_selectorELNS0_4arch9wavefront6targetE0EEEvSR_.private_seg_size, 0
	.set _ZN7rocprim17ROCPRIM_400000_NS6detail17trampoline_kernelINS0_14default_configENS1_22reduce_config_selectorI18summary_stats_dataIfEEEZNS1_11reduce_implILb1ES3_N6thrust23THRUST_200600_302600_NS11hip_rocprim26transform_input_iterator_tIS6_NSA_6detail15normal_iteratorINSA_10device_ptrIfEEEE22summary_stats_unary_opIfEEEPS6_S6_23summary_stats_binary_opIfEEE10hipError_tPvRmT1_T2_T3_mT4_P12ihipStream_tbEUlT_E1_NS1_11comp_targetILNS1_3genE9ELNS1_11target_archE1100ELNS1_3gpuE3ELNS1_3repE0EEENS1_30default_config_static_selectorELNS0_4arch9wavefront6targetE0EEEvSR_.uses_vcc, 0
	.set _ZN7rocprim17ROCPRIM_400000_NS6detail17trampoline_kernelINS0_14default_configENS1_22reduce_config_selectorI18summary_stats_dataIfEEEZNS1_11reduce_implILb1ES3_N6thrust23THRUST_200600_302600_NS11hip_rocprim26transform_input_iterator_tIS6_NSA_6detail15normal_iteratorINSA_10device_ptrIfEEEE22summary_stats_unary_opIfEEEPS6_S6_23summary_stats_binary_opIfEEE10hipError_tPvRmT1_T2_T3_mT4_P12ihipStream_tbEUlT_E1_NS1_11comp_targetILNS1_3genE9ELNS1_11target_archE1100ELNS1_3gpuE3ELNS1_3repE0EEENS1_30default_config_static_selectorELNS0_4arch9wavefront6targetE0EEEvSR_.uses_flat_scratch, 0
	.set _ZN7rocprim17ROCPRIM_400000_NS6detail17trampoline_kernelINS0_14default_configENS1_22reduce_config_selectorI18summary_stats_dataIfEEEZNS1_11reduce_implILb1ES3_N6thrust23THRUST_200600_302600_NS11hip_rocprim26transform_input_iterator_tIS6_NSA_6detail15normal_iteratorINSA_10device_ptrIfEEEE22summary_stats_unary_opIfEEEPS6_S6_23summary_stats_binary_opIfEEE10hipError_tPvRmT1_T2_T3_mT4_P12ihipStream_tbEUlT_E1_NS1_11comp_targetILNS1_3genE9ELNS1_11target_archE1100ELNS1_3gpuE3ELNS1_3repE0EEENS1_30default_config_static_selectorELNS0_4arch9wavefront6targetE0EEEvSR_.has_dyn_sized_stack, 0
	.set _ZN7rocprim17ROCPRIM_400000_NS6detail17trampoline_kernelINS0_14default_configENS1_22reduce_config_selectorI18summary_stats_dataIfEEEZNS1_11reduce_implILb1ES3_N6thrust23THRUST_200600_302600_NS11hip_rocprim26transform_input_iterator_tIS6_NSA_6detail15normal_iteratorINSA_10device_ptrIfEEEE22summary_stats_unary_opIfEEEPS6_S6_23summary_stats_binary_opIfEEE10hipError_tPvRmT1_T2_T3_mT4_P12ihipStream_tbEUlT_E1_NS1_11comp_targetILNS1_3genE9ELNS1_11target_archE1100ELNS1_3gpuE3ELNS1_3repE0EEENS1_30default_config_static_selectorELNS0_4arch9wavefront6targetE0EEEvSR_.has_recursion, 0
	.set _ZN7rocprim17ROCPRIM_400000_NS6detail17trampoline_kernelINS0_14default_configENS1_22reduce_config_selectorI18summary_stats_dataIfEEEZNS1_11reduce_implILb1ES3_N6thrust23THRUST_200600_302600_NS11hip_rocprim26transform_input_iterator_tIS6_NSA_6detail15normal_iteratorINSA_10device_ptrIfEEEE22summary_stats_unary_opIfEEEPS6_S6_23summary_stats_binary_opIfEEE10hipError_tPvRmT1_T2_T3_mT4_P12ihipStream_tbEUlT_E1_NS1_11comp_targetILNS1_3genE9ELNS1_11target_archE1100ELNS1_3gpuE3ELNS1_3repE0EEENS1_30default_config_static_selectorELNS0_4arch9wavefront6targetE0EEEvSR_.has_indirect_call, 0
	.section	.AMDGPU.csdata,"",@progbits
; Kernel info:
; codeLenInByte = 0
; TotalNumSgprs: 0
; NumVgprs: 0
; ScratchSize: 0
; MemoryBound: 0
; FloatMode: 240
; IeeeMode: 1
; LDSByteSize: 0 bytes/workgroup (compile time only)
; SGPRBlocks: 0
; VGPRBlocks: 0
; NumSGPRsForWavesPerEU: 1
; NumVGPRsForWavesPerEU: 1
; NamedBarCnt: 0
; Occupancy: 16
; WaveLimiterHint : 0
; COMPUTE_PGM_RSRC2:SCRATCH_EN: 0
; COMPUTE_PGM_RSRC2:USER_SGPR: 2
; COMPUTE_PGM_RSRC2:TRAP_HANDLER: 0
; COMPUTE_PGM_RSRC2:TGID_X_EN: 1
; COMPUTE_PGM_RSRC2:TGID_Y_EN: 0
; COMPUTE_PGM_RSRC2:TGID_Z_EN: 0
; COMPUTE_PGM_RSRC2:TIDIG_COMP_CNT: 0
	.section	.text._ZN7rocprim17ROCPRIM_400000_NS6detail17trampoline_kernelINS0_14default_configENS1_22reduce_config_selectorI18summary_stats_dataIfEEEZNS1_11reduce_implILb1ES3_N6thrust23THRUST_200600_302600_NS11hip_rocprim26transform_input_iterator_tIS6_NSA_6detail15normal_iteratorINSA_10device_ptrIfEEEE22summary_stats_unary_opIfEEEPS6_S6_23summary_stats_binary_opIfEEE10hipError_tPvRmT1_T2_T3_mT4_P12ihipStream_tbEUlT_E1_NS1_11comp_targetILNS1_3genE8ELNS1_11target_archE1030ELNS1_3gpuE2ELNS1_3repE0EEENS1_30default_config_static_selectorELNS0_4arch9wavefront6targetE0EEEvSR_,"axG",@progbits,_ZN7rocprim17ROCPRIM_400000_NS6detail17trampoline_kernelINS0_14default_configENS1_22reduce_config_selectorI18summary_stats_dataIfEEEZNS1_11reduce_implILb1ES3_N6thrust23THRUST_200600_302600_NS11hip_rocprim26transform_input_iterator_tIS6_NSA_6detail15normal_iteratorINSA_10device_ptrIfEEEE22summary_stats_unary_opIfEEEPS6_S6_23summary_stats_binary_opIfEEE10hipError_tPvRmT1_T2_T3_mT4_P12ihipStream_tbEUlT_E1_NS1_11comp_targetILNS1_3genE8ELNS1_11target_archE1030ELNS1_3gpuE2ELNS1_3repE0EEENS1_30default_config_static_selectorELNS0_4arch9wavefront6targetE0EEEvSR_,comdat
	.protected	_ZN7rocprim17ROCPRIM_400000_NS6detail17trampoline_kernelINS0_14default_configENS1_22reduce_config_selectorI18summary_stats_dataIfEEEZNS1_11reduce_implILb1ES3_N6thrust23THRUST_200600_302600_NS11hip_rocprim26transform_input_iterator_tIS6_NSA_6detail15normal_iteratorINSA_10device_ptrIfEEEE22summary_stats_unary_opIfEEEPS6_S6_23summary_stats_binary_opIfEEE10hipError_tPvRmT1_T2_T3_mT4_P12ihipStream_tbEUlT_E1_NS1_11comp_targetILNS1_3genE8ELNS1_11target_archE1030ELNS1_3gpuE2ELNS1_3repE0EEENS1_30default_config_static_selectorELNS0_4arch9wavefront6targetE0EEEvSR_ ; -- Begin function _ZN7rocprim17ROCPRIM_400000_NS6detail17trampoline_kernelINS0_14default_configENS1_22reduce_config_selectorI18summary_stats_dataIfEEEZNS1_11reduce_implILb1ES3_N6thrust23THRUST_200600_302600_NS11hip_rocprim26transform_input_iterator_tIS6_NSA_6detail15normal_iteratorINSA_10device_ptrIfEEEE22summary_stats_unary_opIfEEEPS6_S6_23summary_stats_binary_opIfEEE10hipError_tPvRmT1_T2_T3_mT4_P12ihipStream_tbEUlT_E1_NS1_11comp_targetILNS1_3genE8ELNS1_11target_archE1030ELNS1_3gpuE2ELNS1_3repE0EEENS1_30default_config_static_selectorELNS0_4arch9wavefront6targetE0EEEvSR_
	.globl	_ZN7rocprim17ROCPRIM_400000_NS6detail17trampoline_kernelINS0_14default_configENS1_22reduce_config_selectorI18summary_stats_dataIfEEEZNS1_11reduce_implILb1ES3_N6thrust23THRUST_200600_302600_NS11hip_rocprim26transform_input_iterator_tIS6_NSA_6detail15normal_iteratorINSA_10device_ptrIfEEEE22summary_stats_unary_opIfEEEPS6_S6_23summary_stats_binary_opIfEEE10hipError_tPvRmT1_T2_T3_mT4_P12ihipStream_tbEUlT_E1_NS1_11comp_targetILNS1_3genE8ELNS1_11target_archE1030ELNS1_3gpuE2ELNS1_3repE0EEENS1_30default_config_static_selectorELNS0_4arch9wavefront6targetE0EEEvSR_
	.p2align	8
	.type	_ZN7rocprim17ROCPRIM_400000_NS6detail17trampoline_kernelINS0_14default_configENS1_22reduce_config_selectorI18summary_stats_dataIfEEEZNS1_11reduce_implILb1ES3_N6thrust23THRUST_200600_302600_NS11hip_rocprim26transform_input_iterator_tIS6_NSA_6detail15normal_iteratorINSA_10device_ptrIfEEEE22summary_stats_unary_opIfEEEPS6_S6_23summary_stats_binary_opIfEEE10hipError_tPvRmT1_T2_T3_mT4_P12ihipStream_tbEUlT_E1_NS1_11comp_targetILNS1_3genE8ELNS1_11target_archE1030ELNS1_3gpuE2ELNS1_3repE0EEENS1_30default_config_static_selectorELNS0_4arch9wavefront6targetE0EEEvSR_,@function
_ZN7rocprim17ROCPRIM_400000_NS6detail17trampoline_kernelINS0_14default_configENS1_22reduce_config_selectorI18summary_stats_dataIfEEEZNS1_11reduce_implILb1ES3_N6thrust23THRUST_200600_302600_NS11hip_rocprim26transform_input_iterator_tIS6_NSA_6detail15normal_iteratorINSA_10device_ptrIfEEEE22summary_stats_unary_opIfEEEPS6_S6_23summary_stats_binary_opIfEEE10hipError_tPvRmT1_T2_T3_mT4_P12ihipStream_tbEUlT_E1_NS1_11comp_targetILNS1_3genE8ELNS1_11target_archE1030ELNS1_3gpuE2ELNS1_3repE0EEENS1_30default_config_static_selectorELNS0_4arch9wavefront6targetE0EEEvSR_: ; @_ZN7rocprim17ROCPRIM_400000_NS6detail17trampoline_kernelINS0_14default_configENS1_22reduce_config_selectorI18summary_stats_dataIfEEEZNS1_11reduce_implILb1ES3_N6thrust23THRUST_200600_302600_NS11hip_rocprim26transform_input_iterator_tIS6_NSA_6detail15normal_iteratorINSA_10device_ptrIfEEEE22summary_stats_unary_opIfEEEPS6_S6_23summary_stats_binary_opIfEEE10hipError_tPvRmT1_T2_T3_mT4_P12ihipStream_tbEUlT_E1_NS1_11comp_targetILNS1_3genE8ELNS1_11target_archE1030ELNS1_3gpuE2ELNS1_3repE0EEENS1_30default_config_static_selectorELNS0_4arch9wavefront6targetE0EEEvSR_
; %bb.0:
	.section	.rodata,"a",@progbits
	.p2align	6, 0x0
	.amdhsa_kernel _ZN7rocprim17ROCPRIM_400000_NS6detail17trampoline_kernelINS0_14default_configENS1_22reduce_config_selectorI18summary_stats_dataIfEEEZNS1_11reduce_implILb1ES3_N6thrust23THRUST_200600_302600_NS11hip_rocprim26transform_input_iterator_tIS6_NSA_6detail15normal_iteratorINSA_10device_ptrIfEEEE22summary_stats_unary_opIfEEEPS6_S6_23summary_stats_binary_opIfEEE10hipError_tPvRmT1_T2_T3_mT4_P12ihipStream_tbEUlT_E1_NS1_11comp_targetILNS1_3genE8ELNS1_11target_archE1030ELNS1_3gpuE2ELNS1_3repE0EEENS1_30default_config_static_selectorELNS0_4arch9wavefront6targetE0EEEvSR_
		.amdhsa_group_segment_fixed_size 0
		.amdhsa_private_segment_fixed_size 0
		.amdhsa_kernarg_size 72
		.amdhsa_user_sgpr_count 2
		.amdhsa_user_sgpr_dispatch_ptr 0
		.amdhsa_user_sgpr_queue_ptr 0
		.amdhsa_user_sgpr_kernarg_segment_ptr 1
		.amdhsa_user_sgpr_dispatch_id 0
		.amdhsa_user_sgpr_kernarg_preload_length 0
		.amdhsa_user_sgpr_kernarg_preload_offset 0
		.amdhsa_user_sgpr_private_segment_size 0
		.amdhsa_wavefront_size32 1
		.amdhsa_uses_dynamic_stack 0
		.amdhsa_enable_private_segment 0
		.amdhsa_system_sgpr_workgroup_id_x 1
		.amdhsa_system_sgpr_workgroup_id_y 0
		.amdhsa_system_sgpr_workgroup_id_z 0
		.amdhsa_system_sgpr_workgroup_info 0
		.amdhsa_system_vgpr_workitem_id 0
		.amdhsa_next_free_vgpr 1
		.amdhsa_next_free_sgpr 1
		.amdhsa_named_barrier_count 0
		.amdhsa_reserve_vcc 0
		.amdhsa_float_round_mode_32 0
		.amdhsa_float_round_mode_16_64 0
		.amdhsa_float_denorm_mode_32 3
		.amdhsa_float_denorm_mode_16_64 3
		.amdhsa_fp16_overflow 0
		.amdhsa_memory_ordered 1
		.amdhsa_forward_progress 1
		.amdhsa_inst_pref_size 0
		.amdhsa_round_robin_scheduling 0
		.amdhsa_exception_fp_ieee_invalid_op 0
		.amdhsa_exception_fp_denorm_src 0
		.amdhsa_exception_fp_ieee_div_zero 0
		.amdhsa_exception_fp_ieee_overflow 0
		.amdhsa_exception_fp_ieee_underflow 0
		.amdhsa_exception_fp_ieee_inexact 0
		.amdhsa_exception_int_div_zero 0
	.end_amdhsa_kernel
	.section	.text._ZN7rocprim17ROCPRIM_400000_NS6detail17trampoline_kernelINS0_14default_configENS1_22reduce_config_selectorI18summary_stats_dataIfEEEZNS1_11reduce_implILb1ES3_N6thrust23THRUST_200600_302600_NS11hip_rocprim26transform_input_iterator_tIS6_NSA_6detail15normal_iteratorINSA_10device_ptrIfEEEE22summary_stats_unary_opIfEEEPS6_S6_23summary_stats_binary_opIfEEE10hipError_tPvRmT1_T2_T3_mT4_P12ihipStream_tbEUlT_E1_NS1_11comp_targetILNS1_3genE8ELNS1_11target_archE1030ELNS1_3gpuE2ELNS1_3repE0EEENS1_30default_config_static_selectorELNS0_4arch9wavefront6targetE0EEEvSR_,"axG",@progbits,_ZN7rocprim17ROCPRIM_400000_NS6detail17trampoline_kernelINS0_14default_configENS1_22reduce_config_selectorI18summary_stats_dataIfEEEZNS1_11reduce_implILb1ES3_N6thrust23THRUST_200600_302600_NS11hip_rocprim26transform_input_iterator_tIS6_NSA_6detail15normal_iteratorINSA_10device_ptrIfEEEE22summary_stats_unary_opIfEEEPS6_S6_23summary_stats_binary_opIfEEE10hipError_tPvRmT1_T2_T3_mT4_P12ihipStream_tbEUlT_E1_NS1_11comp_targetILNS1_3genE8ELNS1_11target_archE1030ELNS1_3gpuE2ELNS1_3repE0EEENS1_30default_config_static_selectorELNS0_4arch9wavefront6targetE0EEEvSR_,comdat
.Lfunc_end35:
	.size	_ZN7rocprim17ROCPRIM_400000_NS6detail17trampoline_kernelINS0_14default_configENS1_22reduce_config_selectorI18summary_stats_dataIfEEEZNS1_11reduce_implILb1ES3_N6thrust23THRUST_200600_302600_NS11hip_rocprim26transform_input_iterator_tIS6_NSA_6detail15normal_iteratorINSA_10device_ptrIfEEEE22summary_stats_unary_opIfEEEPS6_S6_23summary_stats_binary_opIfEEE10hipError_tPvRmT1_T2_T3_mT4_P12ihipStream_tbEUlT_E1_NS1_11comp_targetILNS1_3genE8ELNS1_11target_archE1030ELNS1_3gpuE2ELNS1_3repE0EEENS1_30default_config_static_selectorELNS0_4arch9wavefront6targetE0EEEvSR_, .Lfunc_end35-_ZN7rocprim17ROCPRIM_400000_NS6detail17trampoline_kernelINS0_14default_configENS1_22reduce_config_selectorI18summary_stats_dataIfEEEZNS1_11reduce_implILb1ES3_N6thrust23THRUST_200600_302600_NS11hip_rocprim26transform_input_iterator_tIS6_NSA_6detail15normal_iteratorINSA_10device_ptrIfEEEE22summary_stats_unary_opIfEEEPS6_S6_23summary_stats_binary_opIfEEE10hipError_tPvRmT1_T2_T3_mT4_P12ihipStream_tbEUlT_E1_NS1_11comp_targetILNS1_3genE8ELNS1_11target_archE1030ELNS1_3gpuE2ELNS1_3repE0EEENS1_30default_config_static_selectorELNS0_4arch9wavefront6targetE0EEEvSR_
                                        ; -- End function
	.set _ZN7rocprim17ROCPRIM_400000_NS6detail17trampoline_kernelINS0_14default_configENS1_22reduce_config_selectorI18summary_stats_dataIfEEEZNS1_11reduce_implILb1ES3_N6thrust23THRUST_200600_302600_NS11hip_rocprim26transform_input_iterator_tIS6_NSA_6detail15normal_iteratorINSA_10device_ptrIfEEEE22summary_stats_unary_opIfEEEPS6_S6_23summary_stats_binary_opIfEEE10hipError_tPvRmT1_T2_T3_mT4_P12ihipStream_tbEUlT_E1_NS1_11comp_targetILNS1_3genE8ELNS1_11target_archE1030ELNS1_3gpuE2ELNS1_3repE0EEENS1_30default_config_static_selectorELNS0_4arch9wavefront6targetE0EEEvSR_.num_vgpr, 0
	.set _ZN7rocprim17ROCPRIM_400000_NS6detail17trampoline_kernelINS0_14default_configENS1_22reduce_config_selectorI18summary_stats_dataIfEEEZNS1_11reduce_implILb1ES3_N6thrust23THRUST_200600_302600_NS11hip_rocprim26transform_input_iterator_tIS6_NSA_6detail15normal_iteratorINSA_10device_ptrIfEEEE22summary_stats_unary_opIfEEEPS6_S6_23summary_stats_binary_opIfEEE10hipError_tPvRmT1_T2_T3_mT4_P12ihipStream_tbEUlT_E1_NS1_11comp_targetILNS1_3genE8ELNS1_11target_archE1030ELNS1_3gpuE2ELNS1_3repE0EEENS1_30default_config_static_selectorELNS0_4arch9wavefront6targetE0EEEvSR_.num_agpr, 0
	.set _ZN7rocprim17ROCPRIM_400000_NS6detail17trampoline_kernelINS0_14default_configENS1_22reduce_config_selectorI18summary_stats_dataIfEEEZNS1_11reduce_implILb1ES3_N6thrust23THRUST_200600_302600_NS11hip_rocprim26transform_input_iterator_tIS6_NSA_6detail15normal_iteratorINSA_10device_ptrIfEEEE22summary_stats_unary_opIfEEEPS6_S6_23summary_stats_binary_opIfEEE10hipError_tPvRmT1_T2_T3_mT4_P12ihipStream_tbEUlT_E1_NS1_11comp_targetILNS1_3genE8ELNS1_11target_archE1030ELNS1_3gpuE2ELNS1_3repE0EEENS1_30default_config_static_selectorELNS0_4arch9wavefront6targetE0EEEvSR_.numbered_sgpr, 0
	.set _ZN7rocprim17ROCPRIM_400000_NS6detail17trampoline_kernelINS0_14default_configENS1_22reduce_config_selectorI18summary_stats_dataIfEEEZNS1_11reduce_implILb1ES3_N6thrust23THRUST_200600_302600_NS11hip_rocprim26transform_input_iterator_tIS6_NSA_6detail15normal_iteratorINSA_10device_ptrIfEEEE22summary_stats_unary_opIfEEEPS6_S6_23summary_stats_binary_opIfEEE10hipError_tPvRmT1_T2_T3_mT4_P12ihipStream_tbEUlT_E1_NS1_11comp_targetILNS1_3genE8ELNS1_11target_archE1030ELNS1_3gpuE2ELNS1_3repE0EEENS1_30default_config_static_selectorELNS0_4arch9wavefront6targetE0EEEvSR_.num_named_barrier, 0
	.set _ZN7rocprim17ROCPRIM_400000_NS6detail17trampoline_kernelINS0_14default_configENS1_22reduce_config_selectorI18summary_stats_dataIfEEEZNS1_11reduce_implILb1ES3_N6thrust23THRUST_200600_302600_NS11hip_rocprim26transform_input_iterator_tIS6_NSA_6detail15normal_iteratorINSA_10device_ptrIfEEEE22summary_stats_unary_opIfEEEPS6_S6_23summary_stats_binary_opIfEEE10hipError_tPvRmT1_T2_T3_mT4_P12ihipStream_tbEUlT_E1_NS1_11comp_targetILNS1_3genE8ELNS1_11target_archE1030ELNS1_3gpuE2ELNS1_3repE0EEENS1_30default_config_static_selectorELNS0_4arch9wavefront6targetE0EEEvSR_.private_seg_size, 0
	.set _ZN7rocprim17ROCPRIM_400000_NS6detail17trampoline_kernelINS0_14default_configENS1_22reduce_config_selectorI18summary_stats_dataIfEEEZNS1_11reduce_implILb1ES3_N6thrust23THRUST_200600_302600_NS11hip_rocprim26transform_input_iterator_tIS6_NSA_6detail15normal_iteratorINSA_10device_ptrIfEEEE22summary_stats_unary_opIfEEEPS6_S6_23summary_stats_binary_opIfEEE10hipError_tPvRmT1_T2_T3_mT4_P12ihipStream_tbEUlT_E1_NS1_11comp_targetILNS1_3genE8ELNS1_11target_archE1030ELNS1_3gpuE2ELNS1_3repE0EEENS1_30default_config_static_selectorELNS0_4arch9wavefront6targetE0EEEvSR_.uses_vcc, 0
	.set _ZN7rocprim17ROCPRIM_400000_NS6detail17trampoline_kernelINS0_14default_configENS1_22reduce_config_selectorI18summary_stats_dataIfEEEZNS1_11reduce_implILb1ES3_N6thrust23THRUST_200600_302600_NS11hip_rocprim26transform_input_iterator_tIS6_NSA_6detail15normal_iteratorINSA_10device_ptrIfEEEE22summary_stats_unary_opIfEEEPS6_S6_23summary_stats_binary_opIfEEE10hipError_tPvRmT1_T2_T3_mT4_P12ihipStream_tbEUlT_E1_NS1_11comp_targetILNS1_3genE8ELNS1_11target_archE1030ELNS1_3gpuE2ELNS1_3repE0EEENS1_30default_config_static_selectorELNS0_4arch9wavefront6targetE0EEEvSR_.uses_flat_scratch, 0
	.set _ZN7rocprim17ROCPRIM_400000_NS6detail17trampoline_kernelINS0_14default_configENS1_22reduce_config_selectorI18summary_stats_dataIfEEEZNS1_11reduce_implILb1ES3_N6thrust23THRUST_200600_302600_NS11hip_rocprim26transform_input_iterator_tIS6_NSA_6detail15normal_iteratorINSA_10device_ptrIfEEEE22summary_stats_unary_opIfEEEPS6_S6_23summary_stats_binary_opIfEEE10hipError_tPvRmT1_T2_T3_mT4_P12ihipStream_tbEUlT_E1_NS1_11comp_targetILNS1_3genE8ELNS1_11target_archE1030ELNS1_3gpuE2ELNS1_3repE0EEENS1_30default_config_static_selectorELNS0_4arch9wavefront6targetE0EEEvSR_.has_dyn_sized_stack, 0
	.set _ZN7rocprim17ROCPRIM_400000_NS6detail17trampoline_kernelINS0_14default_configENS1_22reduce_config_selectorI18summary_stats_dataIfEEEZNS1_11reduce_implILb1ES3_N6thrust23THRUST_200600_302600_NS11hip_rocprim26transform_input_iterator_tIS6_NSA_6detail15normal_iteratorINSA_10device_ptrIfEEEE22summary_stats_unary_opIfEEEPS6_S6_23summary_stats_binary_opIfEEE10hipError_tPvRmT1_T2_T3_mT4_P12ihipStream_tbEUlT_E1_NS1_11comp_targetILNS1_3genE8ELNS1_11target_archE1030ELNS1_3gpuE2ELNS1_3repE0EEENS1_30default_config_static_selectorELNS0_4arch9wavefront6targetE0EEEvSR_.has_recursion, 0
	.set _ZN7rocprim17ROCPRIM_400000_NS6detail17trampoline_kernelINS0_14default_configENS1_22reduce_config_selectorI18summary_stats_dataIfEEEZNS1_11reduce_implILb1ES3_N6thrust23THRUST_200600_302600_NS11hip_rocprim26transform_input_iterator_tIS6_NSA_6detail15normal_iteratorINSA_10device_ptrIfEEEE22summary_stats_unary_opIfEEEPS6_S6_23summary_stats_binary_opIfEEE10hipError_tPvRmT1_T2_T3_mT4_P12ihipStream_tbEUlT_E1_NS1_11comp_targetILNS1_3genE8ELNS1_11target_archE1030ELNS1_3gpuE2ELNS1_3repE0EEENS1_30default_config_static_selectorELNS0_4arch9wavefront6targetE0EEEvSR_.has_indirect_call, 0
	.section	.AMDGPU.csdata,"",@progbits
; Kernel info:
; codeLenInByte = 0
; TotalNumSgprs: 0
; NumVgprs: 0
; ScratchSize: 0
; MemoryBound: 0
; FloatMode: 240
; IeeeMode: 1
; LDSByteSize: 0 bytes/workgroup (compile time only)
; SGPRBlocks: 0
; VGPRBlocks: 0
; NumSGPRsForWavesPerEU: 1
; NumVGPRsForWavesPerEU: 1
; NamedBarCnt: 0
; Occupancy: 16
; WaveLimiterHint : 0
; COMPUTE_PGM_RSRC2:SCRATCH_EN: 0
; COMPUTE_PGM_RSRC2:USER_SGPR: 2
; COMPUTE_PGM_RSRC2:TRAP_HANDLER: 0
; COMPUTE_PGM_RSRC2:TGID_X_EN: 1
; COMPUTE_PGM_RSRC2:TGID_Y_EN: 0
; COMPUTE_PGM_RSRC2:TGID_Z_EN: 0
; COMPUTE_PGM_RSRC2:TIDIG_COMP_CNT: 0
	.section	.text._ZN6thrust23THRUST_200600_302600_NS11hip_rocprim14__parallel_for6kernelILj256ENS1_20__uninitialized_copy7functorINS0_6detail15normal_iteratorINS0_10device_ptrIfEEEENS0_7pointerIfNS1_3tagENS0_11use_defaultESD_EEEEmLj1EEEvT0_T1_SH_,"axG",@progbits,_ZN6thrust23THRUST_200600_302600_NS11hip_rocprim14__parallel_for6kernelILj256ENS1_20__uninitialized_copy7functorINS0_6detail15normal_iteratorINS0_10device_ptrIfEEEENS0_7pointerIfNS1_3tagENS0_11use_defaultESD_EEEEmLj1EEEvT0_T1_SH_,comdat
	.protected	_ZN6thrust23THRUST_200600_302600_NS11hip_rocprim14__parallel_for6kernelILj256ENS1_20__uninitialized_copy7functorINS0_6detail15normal_iteratorINS0_10device_ptrIfEEEENS0_7pointerIfNS1_3tagENS0_11use_defaultESD_EEEEmLj1EEEvT0_T1_SH_ ; -- Begin function _ZN6thrust23THRUST_200600_302600_NS11hip_rocprim14__parallel_for6kernelILj256ENS1_20__uninitialized_copy7functorINS0_6detail15normal_iteratorINS0_10device_ptrIfEEEENS0_7pointerIfNS1_3tagENS0_11use_defaultESD_EEEEmLj1EEEvT0_T1_SH_
	.globl	_ZN6thrust23THRUST_200600_302600_NS11hip_rocprim14__parallel_for6kernelILj256ENS1_20__uninitialized_copy7functorINS0_6detail15normal_iteratorINS0_10device_ptrIfEEEENS0_7pointerIfNS1_3tagENS0_11use_defaultESD_EEEEmLj1EEEvT0_T1_SH_
	.p2align	8
	.type	_ZN6thrust23THRUST_200600_302600_NS11hip_rocprim14__parallel_for6kernelILj256ENS1_20__uninitialized_copy7functorINS0_6detail15normal_iteratorINS0_10device_ptrIfEEEENS0_7pointerIfNS1_3tagENS0_11use_defaultESD_EEEEmLj1EEEvT0_T1_SH_,@function
_ZN6thrust23THRUST_200600_302600_NS11hip_rocprim14__parallel_for6kernelILj256ENS1_20__uninitialized_copy7functorINS0_6detail15normal_iteratorINS0_10device_ptrIfEEEENS0_7pointerIfNS1_3tagENS0_11use_defaultESD_EEEEmLj1EEEvT0_T1_SH_: ; @_ZN6thrust23THRUST_200600_302600_NS11hip_rocprim14__parallel_for6kernelILj256ENS1_20__uninitialized_copy7functorINS0_6detail15normal_iteratorINS0_10device_ptrIfEEEENS0_7pointerIfNS1_3tagENS0_11use_defaultESD_EEEEmLj1EEEvT0_T1_SH_
; %bb.0:
	s_load_b256 s[4:11], s[0:1], 0x0
	s_wait_xcnt 0x0
	s_bfe_u32 s0, ttmp6, 0x4000c
	s_and_b32 s1, ttmp6, 15
	s_add_co_i32 s0, s0, 1
	s_getreg_b32 s2, hwreg(HW_REG_IB_STS2, 6, 4)
	s_mul_i32 s0, ttmp9, s0
	s_delay_alu instid0(SALU_CYCLE_1)
	s_add_co_i32 s1, s1, s0
	s_cmp_eq_u32 s2, 0
	s_cselect_b32 s0, ttmp9, s1
	s_mov_b32 s1, 0
	s_lshl_b32 s0, s0, 8
	s_wait_kmcnt 0x0
	s_add_nc_u64 s[0:1], s[10:11], s[0:1]
	s_delay_alu instid0(SALU_CYCLE_1) | instskip(NEXT) | instid1(SALU_CYCLE_1)
	s_sub_nc_u64 s[2:3], s[8:9], s[0:1]
	v_cmp_lt_u64_e64 s3, 0xff, s[2:3]
	s_and_b32 vcc_lo, exec_lo, s3
	s_mov_b32 s3, -1
	s_cbranch_vccz .LBB36_3
; %bb.1:
	s_and_not1_b32 vcc_lo, exec_lo, s3
	s_cbranch_vccz .LBB36_6
.LBB36_2:
	s_endpgm
.LBB36_3:
	v_cmp_gt_u32_e32 vcc_lo, s2, v0
	s_and_saveexec_b32 s2, vcc_lo
	s_cbranch_execz .LBB36_5
; %bb.4:
	v_mov_b32_e32 v1, 0
	s_delay_alu instid0(VALU_DEP_1) | instskip(NEXT) | instid1(VALU_DEP_1)
	v_add_nc_u64_e32 v[2:3], s[0:1], v[0:1]
	v_lshlrev_b64_e32 v[2:3], 2, v[2:3]
	s_delay_alu instid0(VALU_DEP_1)
	v_add_nc_u64_e32 v[4:5], s[4:5], v[2:3]
	v_add_nc_u64_e32 v[2:3], s[6:7], v[2:3]
	flat_load_b32 v1, v[4:5]
	s_wait_loadcnt_dscnt 0x0
	flat_store_b32 v[2:3], v1
.LBB36_5:
	s_wait_xcnt 0x0
	s_or_b32 exec_lo, exec_lo, s2
	s_cbranch_execnz .LBB36_2
.LBB36_6:
	v_mov_b32_e32 v1, 0
	s_delay_alu instid0(VALU_DEP_1) | instskip(NEXT) | instid1(VALU_DEP_1)
	v_add_nc_u64_e32 v[0:1], s[0:1], v[0:1]
	v_lshlrev_b64_e32 v[0:1], 2, v[0:1]
	s_delay_alu instid0(VALU_DEP_1)
	v_add_nc_u64_e32 v[2:3], s[4:5], v[0:1]
	v_add_nc_u64_e32 v[0:1], s[6:7], v[0:1]
	flat_load_b32 v2, v[2:3]
	s_wait_loadcnt_dscnt 0x0
	flat_store_b32 v[0:1], v2
	s_endpgm
	.section	.rodata,"a",@progbits
	.p2align	6, 0x0
	.amdhsa_kernel _ZN6thrust23THRUST_200600_302600_NS11hip_rocprim14__parallel_for6kernelILj256ENS1_20__uninitialized_copy7functorINS0_6detail15normal_iteratorINS0_10device_ptrIfEEEENS0_7pointerIfNS1_3tagENS0_11use_defaultESD_EEEEmLj1EEEvT0_T1_SH_
		.amdhsa_group_segment_fixed_size 0
		.amdhsa_private_segment_fixed_size 0
		.amdhsa_kernarg_size 32
		.amdhsa_user_sgpr_count 2
		.amdhsa_user_sgpr_dispatch_ptr 0
		.amdhsa_user_sgpr_queue_ptr 0
		.amdhsa_user_sgpr_kernarg_segment_ptr 1
		.amdhsa_user_sgpr_dispatch_id 0
		.amdhsa_user_sgpr_kernarg_preload_length 0
		.amdhsa_user_sgpr_kernarg_preload_offset 0
		.amdhsa_user_sgpr_private_segment_size 0
		.amdhsa_wavefront_size32 1
		.amdhsa_uses_dynamic_stack 0
		.amdhsa_enable_private_segment 0
		.amdhsa_system_sgpr_workgroup_id_x 1
		.amdhsa_system_sgpr_workgroup_id_y 0
		.amdhsa_system_sgpr_workgroup_id_z 0
		.amdhsa_system_sgpr_workgroup_info 0
		.amdhsa_system_vgpr_workitem_id 0
		.amdhsa_next_free_vgpr 6
		.amdhsa_next_free_sgpr 12
		.amdhsa_named_barrier_count 0
		.amdhsa_reserve_vcc 1
		.amdhsa_float_round_mode_32 0
		.amdhsa_float_round_mode_16_64 0
		.amdhsa_float_denorm_mode_32 3
		.amdhsa_float_denorm_mode_16_64 3
		.amdhsa_fp16_overflow 0
		.amdhsa_memory_ordered 1
		.amdhsa_forward_progress 1
		.amdhsa_inst_pref_size 2
		.amdhsa_round_robin_scheduling 0
		.amdhsa_exception_fp_ieee_invalid_op 0
		.amdhsa_exception_fp_denorm_src 0
		.amdhsa_exception_fp_ieee_div_zero 0
		.amdhsa_exception_fp_ieee_overflow 0
		.amdhsa_exception_fp_ieee_underflow 0
		.amdhsa_exception_fp_ieee_inexact 0
		.amdhsa_exception_int_div_zero 0
	.end_amdhsa_kernel
	.section	.text._ZN6thrust23THRUST_200600_302600_NS11hip_rocprim14__parallel_for6kernelILj256ENS1_20__uninitialized_copy7functorINS0_6detail15normal_iteratorINS0_10device_ptrIfEEEENS0_7pointerIfNS1_3tagENS0_11use_defaultESD_EEEEmLj1EEEvT0_T1_SH_,"axG",@progbits,_ZN6thrust23THRUST_200600_302600_NS11hip_rocprim14__parallel_for6kernelILj256ENS1_20__uninitialized_copy7functorINS0_6detail15normal_iteratorINS0_10device_ptrIfEEEENS0_7pointerIfNS1_3tagENS0_11use_defaultESD_EEEEmLj1EEEvT0_T1_SH_,comdat
.Lfunc_end36:
	.size	_ZN6thrust23THRUST_200600_302600_NS11hip_rocprim14__parallel_for6kernelILj256ENS1_20__uninitialized_copy7functorINS0_6detail15normal_iteratorINS0_10device_ptrIfEEEENS0_7pointerIfNS1_3tagENS0_11use_defaultESD_EEEEmLj1EEEvT0_T1_SH_, .Lfunc_end36-_ZN6thrust23THRUST_200600_302600_NS11hip_rocprim14__parallel_for6kernelILj256ENS1_20__uninitialized_copy7functorINS0_6detail15normal_iteratorINS0_10device_ptrIfEEEENS0_7pointerIfNS1_3tagENS0_11use_defaultESD_EEEEmLj1EEEvT0_T1_SH_
                                        ; -- End function
	.set _ZN6thrust23THRUST_200600_302600_NS11hip_rocprim14__parallel_for6kernelILj256ENS1_20__uninitialized_copy7functorINS0_6detail15normal_iteratorINS0_10device_ptrIfEEEENS0_7pointerIfNS1_3tagENS0_11use_defaultESD_EEEEmLj1EEEvT0_T1_SH_.num_vgpr, 6
	.set _ZN6thrust23THRUST_200600_302600_NS11hip_rocprim14__parallel_for6kernelILj256ENS1_20__uninitialized_copy7functorINS0_6detail15normal_iteratorINS0_10device_ptrIfEEEENS0_7pointerIfNS1_3tagENS0_11use_defaultESD_EEEEmLj1EEEvT0_T1_SH_.num_agpr, 0
	.set _ZN6thrust23THRUST_200600_302600_NS11hip_rocprim14__parallel_for6kernelILj256ENS1_20__uninitialized_copy7functorINS0_6detail15normal_iteratorINS0_10device_ptrIfEEEENS0_7pointerIfNS1_3tagENS0_11use_defaultESD_EEEEmLj1EEEvT0_T1_SH_.numbered_sgpr, 12
	.set _ZN6thrust23THRUST_200600_302600_NS11hip_rocprim14__parallel_for6kernelILj256ENS1_20__uninitialized_copy7functorINS0_6detail15normal_iteratorINS0_10device_ptrIfEEEENS0_7pointerIfNS1_3tagENS0_11use_defaultESD_EEEEmLj1EEEvT0_T1_SH_.num_named_barrier, 0
	.set _ZN6thrust23THRUST_200600_302600_NS11hip_rocprim14__parallel_for6kernelILj256ENS1_20__uninitialized_copy7functorINS0_6detail15normal_iteratorINS0_10device_ptrIfEEEENS0_7pointerIfNS1_3tagENS0_11use_defaultESD_EEEEmLj1EEEvT0_T1_SH_.private_seg_size, 0
	.set _ZN6thrust23THRUST_200600_302600_NS11hip_rocprim14__parallel_for6kernelILj256ENS1_20__uninitialized_copy7functorINS0_6detail15normal_iteratorINS0_10device_ptrIfEEEENS0_7pointerIfNS1_3tagENS0_11use_defaultESD_EEEEmLj1EEEvT0_T1_SH_.uses_vcc, 1
	.set _ZN6thrust23THRUST_200600_302600_NS11hip_rocprim14__parallel_for6kernelILj256ENS1_20__uninitialized_copy7functorINS0_6detail15normal_iteratorINS0_10device_ptrIfEEEENS0_7pointerIfNS1_3tagENS0_11use_defaultESD_EEEEmLj1EEEvT0_T1_SH_.uses_flat_scratch, 0
	.set _ZN6thrust23THRUST_200600_302600_NS11hip_rocprim14__parallel_for6kernelILj256ENS1_20__uninitialized_copy7functorINS0_6detail15normal_iteratorINS0_10device_ptrIfEEEENS0_7pointerIfNS1_3tagENS0_11use_defaultESD_EEEEmLj1EEEvT0_T1_SH_.has_dyn_sized_stack, 0
	.set _ZN6thrust23THRUST_200600_302600_NS11hip_rocprim14__parallel_for6kernelILj256ENS1_20__uninitialized_copy7functorINS0_6detail15normal_iteratorINS0_10device_ptrIfEEEENS0_7pointerIfNS1_3tagENS0_11use_defaultESD_EEEEmLj1EEEvT0_T1_SH_.has_recursion, 0
	.set _ZN6thrust23THRUST_200600_302600_NS11hip_rocprim14__parallel_for6kernelILj256ENS1_20__uninitialized_copy7functorINS0_6detail15normal_iteratorINS0_10device_ptrIfEEEENS0_7pointerIfNS1_3tagENS0_11use_defaultESD_EEEEmLj1EEEvT0_T1_SH_.has_indirect_call, 0
	.section	.AMDGPU.csdata,"",@progbits
; Kernel info:
; codeLenInByte = 252
; TotalNumSgprs: 14
; NumVgprs: 6
; ScratchSize: 0
; MemoryBound: 0
; FloatMode: 240
; IeeeMode: 1
; LDSByteSize: 0 bytes/workgroup (compile time only)
; SGPRBlocks: 0
; VGPRBlocks: 0
; NumSGPRsForWavesPerEU: 14
; NumVGPRsForWavesPerEU: 6
; NamedBarCnt: 0
; Occupancy: 16
; WaveLimiterHint : 0
; COMPUTE_PGM_RSRC2:SCRATCH_EN: 0
; COMPUTE_PGM_RSRC2:USER_SGPR: 2
; COMPUTE_PGM_RSRC2:TRAP_HANDLER: 0
; COMPUTE_PGM_RSRC2:TGID_X_EN: 1
; COMPUTE_PGM_RSRC2:TGID_Y_EN: 0
; COMPUTE_PGM_RSRC2:TGID_Z_EN: 0
; COMPUTE_PGM_RSRC2:TIDIG_COMP_CNT: 0
	.section	.AMDGPU.gpr_maximums,"",@progbits
	.set amdgpu.max_num_vgpr, 0
	.set amdgpu.max_num_agpr, 0
	.set amdgpu.max_num_sgpr, 0
	.section	.AMDGPU.csdata,"",@progbits
	.type	__hip_cuid_fed4e568975335db,@object ; @__hip_cuid_fed4e568975335db
	.section	.bss,"aw",@nobits
	.globl	__hip_cuid_fed4e568975335db
__hip_cuid_fed4e568975335db:
	.byte	0                               ; 0x0
	.size	__hip_cuid_fed4e568975335db, 1

	.ident	"AMD clang version 22.0.0git (https://github.com/RadeonOpenCompute/llvm-project roc-7.2.4 26084 f58b06dce1f9c15707c5f808fd002e18c2accf7e)"
	.section	".note.GNU-stack","",@progbits
	.addrsig
	.addrsig_sym __hip_cuid_fed4e568975335db
	.amdgpu_metadata
---
amdhsa.kernels:
  - .args:
      - .offset:         0
        .size:           80
        .value_kind:     by_value
    .group_segment_fixed_size: 448
    .kernarg_segment_align: 8
    .kernarg_segment_size: 80
    .language:       OpenCL C
    .language_version:
      - 2
      - 0
    .max_flat_workgroup_size: 256
    .name:           _ZN7rocprim17ROCPRIM_400000_NS6detail17trampoline_kernelINS0_14default_configENS1_22reduce_config_selectorI18summary_stats_dataIfEEEZNS1_11reduce_implILb1ES3_PS6_S9_S6_23summary_stats_binary_opIfEEE10hipError_tPvRmT1_T2_T3_mT4_P12ihipStream_tbEUlT_E0_NS1_11comp_targetILNS1_3genE0ELNS1_11target_archE4294967295ELNS1_3gpuE0ELNS1_3repE0EEENS1_30default_config_static_selectorELNS0_4arch9wavefront6targetE0EEEvSF_
    .private_segment_fixed_size: 0
    .sgpr_count:     30
    .sgpr_spill_count: 0
    .symbol:         _ZN7rocprim17ROCPRIM_400000_NS6detail17trampoline_kernelINS0_14default_configENS1_22reduce_config_selectorI18summary_stats_dataIfEEEZNS1_11reduce_implILb1ES3_PS6_S9_S6_23summary_stats_binary_opIfEEE10hipError_tPvRmT1_T2_T3_mT4_P12ihipStream_tbEUlT_E0_NS1_11comp_targetILNS1_3genE0ELNS1_11target_archE4294967295ELNS1_3gpuE0ELNS1_3repE0EEENS1_30default_config_static_selectorELNS0_4arch9wavefront6targetE0EEEvSF_.kd
    .uniform_work_group_size: 1
    .uses_dynamic_stack: false
    .vgpr_count:     60
    .vgpr_spill_count: 0
    .wavefront_size: 32
  - .args:
      - .offset:         0
        .size:           80
        .value_kind:     by_value
    .group_segment_fixed_size: 0
    .kernarg_segment_align: 8
    .kernarg_segment_size: 80
    .language:       OpenCL C
    .language_version:
      - 2
      - 0
    .max_flat_workgroup_size: 256
    .name:           _ZN7rocprim17ROCPRIM_400000_NS6detail17trampoline_kernelINS0_14default_configENS1_22reduce_config_selectorI18summary_stats_dataIfEEEZNS1_11reduce_implILb1ES3_PS6_S9_S6_23summary_stats_binary_opIfEEE10hipError_tPvRmT1_T2_T3_mT4_P12ihipStream_tbEUlT_E0_NS1_11comp_targetILNS1_3genE5ELNS1_11target_archE942ELNS1_3gpuE9ELNS1_3repE0EEENS1_30default_config_static_selectorELNS0_4arch9wavefront6targetE0EEEvSF_
    .private_segment_fixed_size: 0
    .sgpr_count:     0
    .sgpr_spill_count: 0
    .symbol:         _ZN7rocprim17ROCPRIM_400000_NS6detail17trampoline_kernelINS0_14default_configENS1_22reduce_config_selectorI18summary_stats_dataIfEEEZNS1_11reduce_implILb1ES3_PS6_S9_S6_23summary_stats_binary_opIfEEE10hipError_tPvRmT1_T2_T3_mT4_P12ihipStream_tbEUlT_E0_NS1_11comp_targetILNS1_3genE5ELNS1_11target_archE942ELNS1_3gpuE9ELNS1_3repE0EEENS1_30default_config_static_selectorELNS0_4arch9wavefront6targetE0EEEvSF_.kd
    .uniform_work_group_size: 1
    .uses_dynamic_stack: false
    .vgpr_count:     0
    .vgpr_spill_count: 0
    .wavefront_size: 32
  - .args:
      - .offset:         0
        .size:           80
        .value_kind:     by_value
    .group_segment_fixed_size: 0
    .kernarg_segment_align: 8
    .kernarg_segment_size: 80
    .language:       OpenCL C
    .language_version:
      - 2
      - 0
    .max_flat_workgroup_size: 256
    .name:           _ZN7rocprim17ROCPRIM_400000_NS6detail17trampoline_kernelINS0_14default_configENS1_22reduce_config_selectorI18summary_stats_dataIfEEEZNS1_11reduce_implILb1ES3_PS6_S9_S6_23summary_stats_binary_opIfEEE10hipError_tPvRmT1_T2_T3_mT4_P12ihipStream_tbEUlT_E0_NS1_11comp_targetILNS1_3genE4ELNS1_11target_archE910ELNS1_3gpuE8ELNS1_3repE0EEENS1_30default_config_static_selectorELNS0_4arch9wavefront6targetE0EEEvSF_
    .private_segment_fixed_size: 0
    .sgpr_count:     0
    .sgpr_spill_count: 0
    .symbol:         _ZN7rocprim17ROCPRIM_400000_NS6detail17trampoline_kernelINS0_14default_configENS1_22reduce_config_selectorI18summary_stats_dataIfEEEZNS1_11reduce_implILb1ES3_PS6_S9_S6_23summary_stats_binary_opIfEEE10hipError_tPvRmT1_T2_T3_mT4_P12ihipStream_tbEUlT_E0_NS1_11comp_targetILNS1_3genE4ELNS1_11target_archE910ELNS1_3gpuE8ELNS1_3repE0EEENS1_30default_config_static_selectorELNS0_4arch9wavefront6targetE0EEEvSF_.kd
    .uniform_work_group_size: 1
    .uses_dynamic_stack: false
    .vgpr_count:     0
    .vgpr_spill_count: 0
    .wavefront_size: 32
  - .args:
      - .offset:         0
        .size:           80
        .value_kind:     by_value
    .group_segment_fixed_size: 0
    .kernarg_segment_align: 8
    .kernarg_segment_size: 80
    .language:       OpenCL C
    .language_version:
      - 2
      - 0
    .max_flat_workgroup_size: 256
    .name:           _ZN7rocprim17ROCPRIM_400000_NS6detail17trampoline_kernelINS0_14default_configENS1_22reduce_config_selectorI18summary_stats_dataIfEEEZNS1_11reduce_implILb1ES3_PS6_S9_S6_23summary_stats_binary_opIfEEE10hipError_tPvRmT1_T2_T3_mT4_P12ihipStream_tbEUlT_E0_NS1_11comp_targetILNS1_3genE3ELNS1_11target_archE908ELNS1_3gpuE7ELNS1_3repE0EEENS1_30default_config_static_selectorELNS0_4arch9wavefront6targetE0EEEvSF_
    .private_segment_fixed_size: 0
    .sgpr_count:     0
    .sgpr_spill_count: 0
    .symbol:         _ZN7rocprim17ROCPRIM_400000_NS6detail17trampoline_kernelINS0_14default_configENS1_22reduce_config_selectorI18summary_stats_dataIfEEEZNS1_11reduce_implILb1ES3_PS6_S9_S6_23summary_stats_binary_opIfEEE10hipError_tPvRmT1_T2_T3_mT4_P12ihipStream_tbEUlT_E0_NS1_11comp_targetILNS1_3genE3ELNS1_11target_archE908ELNS1_3gpuE7ELNS1_3repE0EEENS1_30default_config_static_selectorELNS0_4arch9wavefront6targetE0EEEvSF_.kd
    .uniform_work_group_size: 1
    .uses_dynamic_stack: false
    .vgpr_count:     0
    .vgpr_spill_count: 0
    .wavefront_size: 32
  - .args:
      - .offset:         0
        .size:           80
        .value_kind:     by_value
    .group_segment_fixed_size: 0
    .kernarg_segment_align: 8
    .kernarg_segment_size: 80
    .language:       OpenCL C
    .language_version:
      - 2
      - 0
    .max_flat_workgroup_size: 256
    .name:           _ZN7rocprim17ROCPRIM_400000_NS6detail17trampoline_kernelINS0_14default_configENS1_22reduce_config_selectorI18summary_stats_dataIfEEEZNS1_11reduce_implILb1ES3_PS6_S9_S6_23summary_stats_binary_opIfEEE10hipError_tPvRmT1_T2_T3_mT4_P12ihipStream_tbEUlT_E0_NS1_11comp_targetILNS1_3genE2ELNS1_11target_archE906ELNS1_3gpuE6ELNS1_3repE0EEENS1_30default_config_static_selectorELNS0_4arch9wavefront6targetE0EEEvSF_
    .private_segment_fixed_size: 0
    .sgpr_count:     0
    .sgpr_spill_count: 0
    .symbol:         _ZN7rocprim17ROCPRIM_400000_NS6detail17trampoline_kernelINS0_14default_configENS1_22reduce_config_selectorI18summary_stats_dataIfEEEZNS1_11reduce_implILb1ES3_PS6_S9_S6_23summary_stats_binary_opIfEEE10hipError_tPvRmT1_T2_T3_mT4_P12ihipStream_tbEUlT_E0_NS1_11comp_targetILNS1_3genE2ELNS1_11target_archE906ELNS1_3gpuE6ELNS1_3repE0EEENS1_30default_config_static_selectorELNS0_4arch9wavefront6targetE0EEEvSF_.kd
    .uniform_work_group_size: 1
    .uses_dynamic_stack: false
    .vgpr_count:     0
    .vgpr_spill_count: 0
    .wavefront_size: 32
  - .args:
      - .offset:         0
        .size:           80
        .value_kind:     by_value
    .group_segment_fixed_size: 0
    .kernarg_segment_align: 8
    .kernarg_segment_size: 80
    .language:       OpenCL C
    .language_version:
      - 2
      - 0
    .max_flat_workgroup_size: 256
    .name:           _ZN7rocprim17ROCPRIM_400000_NS6detail17trampoline_kernelINS0_14default_configENS1_22reduce_config_selectorI18summary_stats_dataIfEEEZNS1_11reduce_implILb1ES3_PS6_S9_S6_23summary_stats_binary_opIfEEE10hipError_tPvRmT1_T2_T3_mT4_P12ihipStream_tbEUlT_E0_NS1_11comp_targetILNS1_3genE10ELNS1_11target_archE1201ELNS1_3gpuE5ELNS1_3repE0EEENS1_30default_config_static_selectorELNS0_4arch9wavefront6targetE0EEEvSF_
    .private_segment_fixed_size: 0
    .sgpr_count:     0
    .sgpr_spill_count: 0
    .symbol:         _ZN7rocprim17ROCPRIM_400000_NS6detail17trampoline_kernelINS0_14default_configENS1_22reduce_config_selectorI18summary_stats_dataIfEEEZNS1_11reduce_implILb1ES3_PS6_S9_S6_23summary_stats_binary_opIfEEE10hipError_tPvRmT1_T2_T3_mT4_P12ihipStream_tbEUlT_E0_NS1_11comp_targetILNS1_3genE10ELNS1_11target_archE1201ELNS1_3gpuE5ELNS1_3repE0EEENS1_30default_config_static_selectorELNS0_4arch9wavefront6targetE0EEEvSF_.kd
    .uniform_work_group_size: 1
    .uses_dynamic_stack: false
    .vgpr_count:     0
    .vgpr_spill_count: 0
    .wavefront_size: 32
  - .args:
      - .offset:         0
        .size:           80
        .value_kind:     by_value
    .group_segment_fixed_size: 0
    .kernarg_segment_align: 8
    .kernarg_segment_size: 80
    .language:       OpenCL C
    .language_version:
      - 2
      - 0
    .max_flat_workgroup_size: 256
    .name:           _ZN7rocprim17ROCPRIM_400000_NS6detail17trampoline_kernelINS0_14default_configENS1_22reduce_config_selectorI18summary_stats_dataIfEEEZNS1_11reduce_implILb1ES3_PS6_S9_S6_23summary_stats_binary_opIfEEE10hipError_tPvRmT1_T2_T3_mT4_P12ihipStream_tbEUlT_E0_NS1_11comp_targetILNS1_3genE10ELNS1_11target_archE1200ELNS1_3gpuE4ELNS1_3repE0EEENS1_30default_config_static_selectorELNS0_4arch9wavefront6targetE0EEEvSF_
    .private_segment_fixed_size: 0
    .sgpr_count:     0
    .sgpr_spill_count: 0
    .symbol:         _ZN7rocprim17ROCPRIM_400000_NS6detail17trampoline_kernelINS0_14default_configENS1_22reduce_config_selectorI18summary_stats_dataIfEEEZNS1_11reduce_implILb1ES3_PS6_S9_S6_23summary_stats_binary_opIfEEE10hipError_tPvRmT1_T2_T3_mT4_P12ihipStream_tbEUlT_E0_NS1_11comp_targetILNS1_3genE10ELNS1_11target_archE1200ELNS1_3gpuE4ELNS1_3repE0EEENS1_30default_config_static_selectorELNS0_4arch9wavefront6targetE0EEEvSF_.kd
    .uniform_work_group_size: 1
    .uses_dynamic_stack: false
    .vgpr_count:     0
    .vgpr_spill_count: 0
    .wavefront_size: 32
  - .args:
      - .offset:         0
        .size:           80
        .value_kind:     by_value
    .group_segment_fixed_size: 0
    .kernarg_segment_align: 8
    .kernarg_segment_size: 80
    .language:       OpenCL C
    .language_version:
      - 2
      - 0
    .max_flat_workgroup_size: 256
    .name:           _ZN7rocprim17ROCPRIM_400000_NS6detail17trampoline_kernelINS0_14default_configENS1_22reduce_config_selectorI18summary_stats_dataIfEEEZNS1_11reduce_implILb1ES3_PS6_S9_S6_23summary_stats_binary_opIfEEE10hipError_tPvRmT1_T2_T3_mT4_P12ihipStream_tbEUlT_E0_NS1_11comp_targetILNS1_3genE9ELNS1_11target_archE1100ELNS1_3gpuE3ELNS1_3repE0EEENS1_30default_config_static_selectorELNS0_4arch9wavefront6targetE0EEEvSF_
    .private_segment_fixed_size: 0
    .sgpr_count:     0
    .sgpr_spill_count: 0
    .symbol:         _ZN7rocprim17ROCPRIM_400000_NS6detail17trampoline_kernelINS0_14default_configENS1_22reduce_config_selectorI18summary_stats_dataIfEEEZNS1_11reduce_implILb1ES3_PS6_S9_S6_23summary_stats_binary_opIfEEE10hipError_tPvRmT1_T2_T3_mT4_P12ihipStream_tbEUlT_E0_NS1_11comp_targetILNS1_3genE9ELNS1_11target_archE1100ELNS1_3gpuE3ELNS1_3repE0EEENS1_30default_config_static_selectorELNS0_4arch9wavefront6targetE0EEEvSF_.kd
    .uniform_work_group_size: 1
    .uses_dynamic_stack: false
    .vgpr_count:     0
    .vgpr_spill_count: 0
    .wavefront_size: 32
  - .args:
      - .offset:         0
        .size:           80
        .value_kind:     by_value
    .group_segment_fixed_size: 0
    .kernarg_segment_align: 8
    .kernarg_segment_size: 80
    .language:       OpenCL C
    .language_version:
      - 2
      - 0
    .max_flat_workgroup_size: 256
    .name:           _ZN7rocprim17ROCPRIM_400000_NS6detail17trampoline_kernelINS0_14default_configENS1_22reduce_config_selectorI18summary_stats_dataIfEEEZNS1_11reduce_implILb1ES3_PS6_S9_S6_23summary_stats_binary_opIfEEE10hipError_tPvRmT1_T2_T3_mT4_P12ihipStream_tbEUlT_E0_NS1_11comp_targetILNS1_3genE8ELNS1_11target_archE1030ELNS1_3gpuE2ELNS1_3repE0EEENS1_30default_config_static_selectorELNS0_4arch9wavefront6targetE0EEEvSF_
    .private_segment_fixed_size: 0
    .sgpr_count:     0
    .sgpr_spill_count: 0
    .symbol:         _ZN7rocprim17ROCPRIM_400000_NS6detail17trampoline_kernelINS0_14default_configENS1_22reduce_config_selectorI18summary_stats_dataIfEEEZNS1_11reduce_implILb1ES3_PS6_S9_S6_23summary_stats_binary_opIfEEE10hipError_tPvRmT1_T2_T3_mT4_P12ihipStream_tbEUlT_E0_NS1_11comp_targetILNS1_3genE8ELNS1_11target_archE1030ELNS1_3gpuE2ELNS1_3repE0EEENS1_30default_config_static_selectorELNS0_4arch9wavefront6targetE0EEEvSF_.kd
    .uniform_work_group_size: 1
    .uses_dynamic_stack: false
    .vgpr_count:     0
    .vgpr_spill_count: 0
    .wavefront_size: 32
  - .args:
      - .offset:         0
        .size:           64
        .value_kind:     by_value
    .group_segment_fixed_size: 896
    .kernarg_segment_align: 8
    .kernarg_segment_size: 64
    .language:       OpenCL C
    .language_version:
      - 2
      - 0
    .max_flat_workgroup_size: 256
    .name:           _ZN7rocprim17ROCPRIM_400000_NS6detail17trampoline_kernelINS0_14default_configENS1_22reduce_config_selectorI18summary_stats_dataIfEEEZNS1_11reduce_implILb1ES3_PS6_S9_S6_23summary_stats_binary_opIfEEE10hipError_tPvRmT1_T2_T3_mT4_P12ihipStream_tbEUlT_E1_NS1_11comp_targetILNS1_3genE0ELNS1_11target_archE4294967295ELNS1_3gpuE0ELNS1_3repE0EEENS1_30default_config_static_selectorELNS0_4arch9wavefront6targetE0EEEvSF_
    .private_segment_fixed_size: 0
    .sgpr_count:     29
    .sgpr_spill_count: 0
    .symbol:         _ZN7rocprim17ROCPRIM_400000_NS6detail17trampoline_kernelINS0_14default_configENS1_22reduce_config_selectorI18summary_stats_dataIfEEEZNS1_11reduce_implILb1ES3_PS6_S9_S6_23summary_stats_binary_opIfEEE10hipError_tPvRmT1_T2_T3_mT4_P12ihipStream_tbEUlT_E1_NS1_11comp_targetILNS1_3genE0ELNS1_11target_archE4294967295ELNS1_3gpuE0ELNS1_3repE0EEENS1_30default_config_static_selectorELNS0_4arch9wavefront6targetE0EEEvSF_.kd
    .uniform_work_group_size: 1
    .uses_dynamic_stack: false
    .vgpr_count:     59
    .vgpr_spill_count: 0
    .wavefront_size: 32
  - .args:
      - .offset:         0
        .size:           64
        .value_kind:     by_value
    .group_segment_fixed_size: 0
    .kernarg_segment_align: 8
    .kernarg_segment_size: 64
    .language:       OpenCL C
    .language_version:
      - 2
      - 0
    .max_flat_workgroup_size: 256
    .name:           _ZN7rocprim17ROCPRIM_400000_NS6detail17trampoline_kernelINS0_14default_configENS1_22reduce_config_selectorI18summary_stats_dataIfEEEZNS1_11reduce_implILb1ES3_PS6_S9_S6_23summary_stats_binary_opIfEEE10hipError_tPvRmT1_T2_T3_mT4_P12ihipStream_tbEUlT_E1_NS1_11comp_targetILNS1_3genE5ELNS1_11target_archE942ELNS1_3gpuE9ELNS1_3repE0EEENS1_30default_config_static_selectorELNS0_4arch9wavefront6targetE0EEEvSF_
    .private_segment_fixed_size: 0
    .sgpr_count:     0
    .sgpr_spill_count: 0
    .symbol:         _ZN7rocprim17ROCPRIM_400000_NS6detail17trampoline_kernelINS0_14default_configENS1_22reduce_config_selectorI18summary_stats_dataIfEEEZNS1_11reduce_implILb1ES3_PS6_S9_S6_23summary_stats_binary_opIfEEE10hipError_tPvRmT1_T2_T3_mT4_P12ihipStream_tbEUlT_E1_NS1_11comp_targetILNS1_3genE5ELNS1_11target_archE942ELNS1_3gpuE9ELNS1_3repE0EEENS1_30default_config_static_selectorELNS0_4arch9wavefront6targetE0EEEvSF_.kd
    .uniform_work_group_size: 1
    .uses_dynamic_stack: false
    .vgpr_count:     0
    .vgpr_spill_count: 0
    .wavefront_size: 32
  - .args:
      - .offset:         0
        .size:           64
        .value_kind:     by_value
    .group_segment_fixed_size: 0
    .kernarg_segment_align: 8
    .kernarg_segment_size: 64
    .language:       OpenCL C
    .language_version:
      - 2
      - 0
    .max_flat_workgroup_size: 256
    .name:           _ZN7rocprim17ROCPRIM_400000_NS6detail17trampoline_kernelINS0_14default_configENS1_22reduce_config_selectorI18summary_stats_dataIfEEEZNS1_11reduce_implILb1ES3_PS6_S9_S6_23summary_stats_binary_opIfEEE10hipError_tPvRmT1_T2_T3_mT4_P12ihipStream_tbEUlT_E1_NS1_11comp_targetILNS1_3genE4ELNS1_11target_archE910ELNS1_3gpuE8ELNS1_3repE0EEENS1_30default_config_static_selectorELNS0_4arch9wavefront6targetE0EEEvSF_
    .private_segment_fixed_size: 0
    .sgpr_count:     0
    .sgpr_spill_count: 0
    .symbol:         _ZN7rocprim17ROCPRIM_400000_NS6detail17trampoline_kernelINS0_14default_configENS1_22reduce_config_selectorI18summary_stats_dataIfEEEZNS1_11reduce_implILb1ES3_PS6_S9_S6_23summary_stats_binary_opIfEEE10hipError_tPvRmT1_T2_T3_mT4_P12ihipStream_tbEUlT_E1_NS1_11comp_targetILNS1_3genE4ELNS1_11target_archE910ELNS1_3gpuE8ELNS1_3repE0EEENS1_30default_config_static_selectorELNS0_4arch9wavefront6targetE0EEEvSF_.kd
    .uniform_work_group_size: 1
    .uses_dynamic_stack: false
    .vgpr_count:     0
    .vgpr_spill_count: 0
    .wavefront_size: 32
  - .args:
      - .offset:         0
        .size:           64
        .value_kind:     by_value
    .group_segment_fixed_size: 0
    .kernarg_segment_align: 8
    .kernarg_segment_size: 64
    .language:       OpenCL C
    .language_version:
      - 2
      - 0
    .max_flat_workgroup_size: 256
    .name:           _ZN7rocprim17ROCPRIM_400000_NS6detail17trampoline_kernelINS0_14default_configENS1_22reduce_config_selectorI18summary_stats_dataIfEEEZNS1_11reduce_implILb1ES3_PS6_S9_S6_23summary_stats_binary_opIfEEE10hipError_tPvRmT1_T2_T3_mT4_P12ihipStream_tbEUlT_E1_NS1_11comp_targetILNS1_3genE3ELNS1_11target_archE908ELNS1_3gpuE7ELNS1_3repE0EEENS1_30default_config_static_selectorELNS0_4arch9wavefront6targetE0EEEvSF_
    .private_segment_fixed_size: 0
    .sgpr_count:     0
    .sgpr_spill_count: 0
    .symbol:         _ZN7rocprim17ROCPRIM_400000_NS6detail17trampoline_kernelINS0_14default_configENS1_22reduce_config_selectorI18summary_stats_dataIfEEEZNS1_11reduce_implILb1ES3_PS6_S9_S6_23summary_stats_binary_opIfEEE10hipError_tPvRmT1_T2_T3_mT4_P12ihipStream_tbEUlT_E1_NS1_11comp_targetILNS1_3genE3ELNS1_11target_archE908ELNS1_3gpuE7ELNS1_3repE0EEENS1_30default_config_static_selectorELNS0_4arch9wavefront6targetE0EEEvSF_.kd
    .uniform_work_group_size: 1
    .uses_dynamic_stack: false
    .vgpr_count:     0
    .vgpr_spill_count: 0
    .wavefront_size: 32
  - .args:
      - .offset:         0
        .size:           64
        .value_kind:     by_value
    .group_segment_fixed_size: 0
    .kernarg_segment_align: 8
    .kernarg_segment_size: 64
    .language:       OpenCL C
    .language_version:
      - 2
      - 0
    .max_flat_workgroup_size: 256
    .name:           _ZN7rocprim17ROCPRIM_400000_NS6detail17trampoline_kernelINS0_14default_configENS1_22reduce_config_selectorI18summary_stats_dataIfEEEZNS1_11reduce_implILb1ES3_PS6_S9_S6_23summary_stats_binary_opIfEEE10hipError_tPvRmT1_T2_T3_mT4_P12ihipStream_tbEUlT_E1_NS1_11comp_targetILNS1_3genE2ELNS1_11target_archE906ELNS1_3gpuE6ELNS1_3repE0EEENS1_30default_config_static_selectorELNS0_4arch9wavefront6targetE0EEEvSF_
    .private_segment_fixed_size: 0
    .sgpr_count:     0
    .sgpr_spill_count: 0
    .symbol:         _ZN7rocprim17ROCPRIM_400000_NS6detail17trampoline_kernelINS0_14default_configENS1_22reduce_config_selectorI18summary_stats_dataIfEEEZNS1_11reduce_implILb1ES3_PS6_S9_S6_23summary_stats_binary_opIfEEE10hipError_tPvRmT1_T2_T3_mT4_P12ihipStream_tbEUlT_E1_NS1_11comp_targetILNS1_3genE2ELNS1_11target_archE906ELNS1_3gpuE6ELNS1_3repE0EEENS1_30default_config_static_selectorELNS0_4arch9wavefront6targetE0EEEvSF_.kd
    .uniform_work_group_size: 1
    .uses_dynamic_stack: false
    .vgpr_count:     0
    .vgpr_spill_count: 0
    .wavefront_size: 32
  - .args:
      - .offset:         0
        .size:           64
        .value_kind:     by_value
    .group_segment_fixed_size: 0
    .kernarg_segment_align: 8
    .kernarg_segment_size: 64
    .language:       OpenCL C
    .language_version:
      - 2
      - 0
    .max_flat_workgroup_size: 256
    .name:           _ZN7rocprim17ROCPRIM_400000_NS6detail17trampoline_kernelINS0_14default_configENS1_22reduce_config_selectorI18summary_stats_dataIfEEEZNS1_11reduce_implILb1ES3_PS6_S9_S6_23summary_stats_binary_opIfEEE10hipError_tPvRmT1_T2_T3_mT4_P12ihipStream_tbEUlT_E1_NS1_11comp_targetILNS1_3genE10ELNS1_11target_archE1201ELNS1_3gpuE5ELNS1_3repE0EEENS1_30default_config_static_selectorELNS0_4arch9wavefront6targetE0EEEvSF_
    .private_segment_fixed_size: 0
    .sgpr_count:     0
    .sgpr_spill_count: 0
    .symbol:         _ZN7rocprim17ROCPRIM_400000_NS6detail17trampoline_kernelINS0_14default_configENS1_22reduce_config_selectorI18summary_stats_dataIfEEEZNS1_11reduce_implILb1ES3_PS6_S9_S6_23summary_stats_binary_opIfEEE10hipError_tPvRmT1_T2_T3_mT4_P12ihipStream_tbEUlT_E1_NS1_11comp_targetILNS1_3genE10ELNS1_11target_archE1201ELNS1_3gpuE5ELNS1_3repE0EEENS1_30default_config_static_selectorELNS0_4arch9wavefront6targetE0EEEvSF_.kd
    .uniform_work_group_size: 1
    .uses_dynamic_stack: false
    .vgpr_count:     0
    .vgpr_spill_count: 0
    .wavefront_size: 32
  - .args:
      - .offset:         0
        .size:           64
        .value_kind:     by_value
    .group_segment_fixed_size: 0
    .kernarg_segment_align: 8
    .kernarg_segment_size: 64
    .language:       OpenCL C
    .language_version:
      - 2
      - 0
    .max_flat_workgroup_size: 256
    .name:           _ZN7rocprim17ROCPRIM_400000_NS6detail17trampoline_kernelINS0_14default_configENS1_22reduce_config_selectorI18summary_stats_dataIfEEEZNS1_11reduce_implILb1ES3_PS6_S9_S6_23summary_stats_binary_opIfEEE10hipError_tPvRmT1_T2_T3_mT4_P12ihipStream_tbEUlT_E1_NS1_11comp_targetILNS1_3genE10ELNS1_11target_archE1200ELNS1_3gpuE4ELNS1_3repE0EEENS1_30default_config_static_selectorELNS0_4arch9wavefront6targetE0EEEvSF_
    .private_segment_fixed_size: 0
    .sgpr_count:     0
    .sgpr_spill_count: 0
    .symbol:         _ZN7rocprim17ROCPRIM_400000_NS6detail17trampoline_kernelINS0_14default_configENS1_22reduce_config_selectorI18summary_stats_dataIfEEEZNS1_11reduce_implILb1ES3_PS6_S9_S6_23summary_stats_binary_opIfEEE10hipError_tPvRmT1_T2_T3_mT4_P12ihipStream_tbEUlT_E1_NS1_11comp_targetILNS1_3genE10ELNS1_11target_archE1200ELNS1_3gpuE4ELNS1_3repE0EEENS1_30default_config_static_selectorELNS0_4arch9wavefront6targetE0EEEvSF_.kd
    .uniform_work_group_size: 1
    .uses_dynamic_stack: false
    .vgpr_count:     0
    .vgpr_spill_count: 0
    .wavefront_size: 32
  - .args:
      - .offset:         0
        .size:           64
        .value_kind:     by_value
    .group_segment_fixed_size: 0
    .kernarg_segment_align: 8
    .kernarg_segment_size: 64
    .language:       OpenCL C
    .language_version:
      - 2
      - 0
    .max_flat_workgroup_size: 256
    .name:           _ZN7rocprim17ROCPRIM_400000_NS6detail17trampoline_kernelINS0_14default_configENS1_22reduce_config_selectorI18summary_stats_dataIfEEEZNS1_11reduce_implILb1ES3_PS6_S9_S6_23summary_stats_binary_opIfEEE10hipError_tPvRmT1_T2_T3_mT4_P12ihipStream_tbEUlT_E1_NS1_11comp_targetILNS1_3genE9ELNS1_11target_archE1100ELNS1_3gpuE3ELNS1_3repE0EEENS1_30default_config_static_selectorELNS0_4arch9wavefront6targetE0EEEvSF_
    .private_segment_fixed_size: 0
    .sgpr_count:     0
    .sgpr_spill_count: 0
    .symbol:         _ZN7rocprim17ROCPRIM_400000_NS6detail17trampoline_kernelINS0_14default_configENS1_22reduce_config_selectorI18summary_stats_dataIfEEEZNS1_11reduce_implILb1ES3_PS6_S9_S6_23summary_stats_binary_opIfEEE10hipError_tPvRmT1_T2_T3_mT4_P12ihipStream_tbEUlT_E1_NS1_11comp_targetILNS1_3genE9ELNS1_11target_archE1100ELNS1_3gpuE3ELNS1_3repE0EEENS1_30default_config_static_selectorELNS0_4arch9wavefront6targetE0EEEvSF_.kd
    .uniform_work_group_size: 1
    .uses_dynamic_stack: false
    .vgpr_count:     0
    .vgpr_spill_count: 0
    .wavefront_size: 32
  - .args:
      - .offset:         0
        .size:           64
        .value_kind:     by_value
    .group_segment_fixed_size: 0
    .kernarg_segment_align: 8
    .kernarg_segment_size: 64
    .language:       OpenCL C
    .language_version:
      - 2
      - 0
    .max_flat_workgroup_size: 256
    .name:           _ZN7rocprim17ROCPRIM_400000_NS6detail17trampoline_kernelINS0_14default_configENS1_22reduce_config_selectorI18summary_stats_dataIfEEEZNS1_11reduce_implILb1ES3_PS6_S9_S6_23summary_stats_binary_opIfEEE10hipError_tPvRmT1_T2_T3_mT4_P12ihipStream_tbEUlT_E1_NS1_11comp_targetILNS1_3genE8ELNS1_11target_archE1030ELNS1_3gpuE2ELNS1_3repE0EEENS1_30default_config_static_selectorELNS0_4arch9wavefront6targetE0EEEvSF_
    .private_segment_fixed_size: 0
    .sgpr_count:     0
    .sgpr_spill_count: 0
    .symbol:         _ZN7rocprim17ROCPRIM_400000_NS6detail17trampoline_kernelINS0_14default_configENS1_22reduce_config_selectorI18summary_stats_dataIfEEEZNS1_11reduce_implILb1ES3_PS6_S9_S6_23summary_stats_binary_opIfEEE10hipError_tPvRmT1_T2_T3_mT4_P12ihipStream_tbEUlT_E1_NS1_11comp_targetILNS1_3genE8ELNS1_11target_archE1030ELNS1_3gpuE2ELNS1_3repE0EEENS1_30default_config_static_selectorELNS0_4arch9wavefront6targetE0EEEvSF_.kd
    .uniform_work_group_size: 1
    .uses_dynamic_stack: false
    .vgpr_count:     0
    .vgpr_spill_count: 0
    .wavefront_size: 32
  - .args:
      - .offset:         0
        .size:           88
        .value_kind:     by_value
    .group_segment_fixed_size: 448
    .kernarg_segment_align: 8
    .kernarg_segment_size: 88
    .language:       OpenCL C
    .language_version:
      - 2
      - 0
    .max_flat_workgroup_size: 256
    .name:           _ZN7rocprim17ROCPRIM_400000_NS6detail17trampoline_kernelINS0_14default_configENS1_22reduce_config_selectorI18summary_stats_dataIfEEEZNS1_11reduce_implILb1ES3_N6thrust23THRUST_200600_302600_NS11hip_rocprim26transform_input_iterator_tIS6_NSA_6detail15normal_iteratorINSA_10device_ptrIfEEEE22summary_stats_unary_opIfEEEPS6_S6_23summary_stats_binary_opIfEEE10hipError_tPvRmT1_T2_T3_mT4_P12ihipStream_tbEUlT_E0_NS1_11comp_targetILNS1_3genE0ELNS1_11target_archE4294967295ELNS1_3gpuE0ELNS1_3repE0EEENS1_30default_config_static_selectorELNS0_4arch9wavefront6targetE0EEEvSR_
    .private_segment_fixed_size: 0
    .sgpr_count:     32
    .sgpr_spill_count: 0
    .symbol:         _ZN7rocprim17ROCPRIM_400000_NS6detail17trampoline_kernelINS0_14default_configENS1_22reduce_config_selectorI18summary_stats_dataIfEEEZNS1_11reduce_implILb1ES3_N6thrust23THRUST_200600_302600_NS11hip_rocprim26transform_input_iterator_tIS6_NSA_6detail15normal_iteratorINSA_10device_ptrIfEEEE22summary_stats_unary_opIfEEEPS6_S6_23summary_stats_binary_opIfEEE10hipError_tPvRmT1_T2_T3_mT4_P12ihipStream_tbEUlT_E0_NS1_11comp_targetILNS1_3genE0ELNS1_11target_archE4294967295ELNS1_3gpuE0ELNS1_3repE0EEENS1_30default_config_static_selectorELNS0_4arch9wavefront6targetE0EEEvSR_.kd
    .uniform_work_group_size: 1
    .uses_dynamic_stack: false
    .vgpr_count:     58
    .vgpr_spill_count: 0
    .wavefront_size: 32
  - .args:
      - .offset:         0
        .size:           88
        .value_kind:     by_value
    .group_segment_fixed_size: 0
    .kernarg_segment_align: 8
    .kernarg_segment_size: 88
    .language:       OpenCL C
    .language_version:
      - 2
      - 0
    .max_flat_workgroup_size: 256
    .name:           _ZN7rocprim17ROCPRIM_400000_NS6detail17trampoline_kernelINS0_14default_configENS1_22reduce_config_selectorI18summary_stats_dataIfEEEZNS1_11reduce_implILb1ES3_N6thrust23THRUST_200600_302600_NS11hip_rocprim26transform_input_iterator_tIS6_NSA_6detail15normal_iteratorINSA_10device_ptrIfEEEE22summary_stats_unary_opIfEEEPS6_S6_23summary_stats_binary_opIfEEE10hipError_tPvRmT1_T2_T3_mT4_P12ihipStream_tbEUlT_E0_NS1_11comp_targetILNS1_3genE5ELNS1_11target_archE942ELNS1_3gpuE9ELNS1_3repE0EEENS1_30default_config_static_selectorELNS0_4arch9wavefront6targetE0EEEvSR_
    .private_segment_fixed_size: 0
    .sgpr_count:     0
    .sgpr_spill_count: 0
    .symbol:         _ZN7rocprim17ROCPRIM_400000_NS6detail17trampoline_kernelINS0_14default_configENS1_22reduce_config_selectorI18summary_stats_dataIfEEEZNS1_11reduce_implILb1ES3_N6thrust23THRUST_200600_302600_NS11hip_rocprim26transform_input_iterator_tIS6_NSA_6detail15normal_iteratorINSA_10device_ptrIfEEEE22summary_stats_unary_opIfEEEPS6_S6_23summary_stats_binary_opIfEEE10hipError_tPvRmT1_T2_T3_mT4_P12ihipStream_tbEUlT_E0_NS1_11comp_targetILNS1_3genE5ELNS1_11target_archE942ELNS1_3gpuE9ELNS1_3repE0EEENS1_30default_config_static_selectorELNS0_4arch9wavefront6targetE0EEEvSR_.kd
    .uniform_work_group_size: 1
    .uses_dynamic_stack: false
    .vgpr_count:     0
    .vgpr_spill_count: 0
    .wavefront_size: 32
  - .args:
      - .offset:         0
        .size:           88
        .value_kind:     by_value
    .group_segment_fixed_size: 0
    .kernarg_segment_align: 8
    .kernarg_segment_size: 88
    .language:       OpenCL C
    .language_version:
      - 2
      - 0
    .max_flat_workgroup_size: 256
    .name:           _ZN7rocprim17ROCPRIM_400000_NS6detail17trampoline_kernelINS0_14default_configENS1_22reduce_config_selectorI18summary_stats_dataIfEEEZNS1_11reduce_implILb1ES3_N6thrust23THRUST_200600_302600_NS11hip_rocprim26transform_input_iterator_tIS6_NSA_6detail15normal_iteratorINSA_10device_ptrIfEEEE22summary_stats_unary_opIfEEEPS6_S6_23summary_stats_binary_opIfEEE10hipError_tPvRmT1_T2_T3_mT4_P12ihipStream_tbEUlT_E0_NS1_11comp_targetILNS1_3genE4ELNS1_11target_archE910ELNS1_3gpuE8ELNS1_3repE0EEENS1_30default_config_static_selectorELNS0_4arch9wavefront6targetE0EEEvSR_
    .private_segment_fixed_size: 0
    .sgpr_count:     0
    .sgpr_spill_count: 0
    .symbol:         _ZN7rocprim17ROCPRIM_400000_NS6detail17trampoline_kernelINS0_14default_configENS1_22reduce_config_selectorI18summary_stats_dataIfEEEZNS1_11reduce_implILb1ES3_N6thrust23THRUST_200600_302600_NS11hip_rocprim26transform_input_iterator_tIS6_NSA_6detail15normal_iteratorINSA_10device_ptrIfEEEE22summary_stats_unary_opIfEEEPS6_S6_23summary_stats_binary_opIfEEE10hipError_tPvRmT1_T2_T3_mT4_P12ihipStream_tbEUlT_E0_NS1_11comp_targetILNS1_3genE4ELNS1_11target_archE910ELNS1_3gpuE8ELNS1_3repE0EEENS1_30default_config_static_selectorELNS0_4arch9wavefront6targetE0EEEvSR_.kd
    .uniform_work_group_size: 1
    .uses_dynamic_stack: false
    .vgpr_count:     0
    .vgpr_spill_count: 0
    .wavefront_size: 32
  - .args:
      - .offset:         0
        .size:           88
        .value_kind:     by_value
    .group_segment_fixed_size: 0
    .kernarg_segment_align: 8
    .kernarg_segment_size: 88
    .language:       OpenCL C
    .language_version:
      - 2
      - 0
    .max_flat_workgroup_size: 256
    .name:           _ZN7rocprim17ROCPRIM_400000_NS6detail17trampoline_kernelINS0_14default_configENS1_22reduce_config_selectorI18summary_stats_dataIfEEEZNS1_11reduce_implILb1ES3_N6thrust23THRUST_200600_302600_NS11hip_rocprim26transform_input_iterator_tIS6_NSA_6detail15normal_iteratorINSA_10device_ptrIfEEEE22summary_stats_unary_opIfEEEPS6_S6_23summary_stats_binary_opIfEEE10hipError_tPvRmT1_T2_T3_mT4_P12ihipStream_tbEUlT_E0_NS1_11comp_targetILNS1_3genE3ELNS1_11target_archE908ELNS1_3gpuE7ELNS1_3repE0EEENS1_30default_config_static_selectorELNS0_4arch9wavefront6targetE0EEEvSR_
    .private_segment_fixed_size: 0
    .sgpr_count:     0
    .sgpr_spill_count: 0
    .symbol:         _ZN7rocprim17ROCPRIM_400000_NS6detail17trampoline_kernelINS0_14default_configENS1_22reduce_config_selectorI18summary_stats_dataIfEEEZNS1_11reduce_implILb1ES3_N6thrust23THRUST_200600_302600_NS11hip_rocprim26transform_input_iterator_tIS6_NSA_6detail15normal_iteratorINSA_10device_ptrIfEEEE22summary_stats_unary_opIfEEEPS6_S6_23summary_stats_binary_opIfEEE10hipError_tPvRmT1_T2_T3_mT4_P12ihipStream_tbEUlT_E0_NS1_11comp_targetILNS1_3genE3ELNS1_11target_archE908ELNS1_3gpuE7ELNS1_3repE0EEENS1_30default_config_static_selectorELNS0_4arch9wavefront6targetE0EEEvSR_.kd
    .uniform_work_group_size: 1
    .uses_dynamic_stack: false
    .vgpr_count:     0
    .vgpr_spill_count: 0
    .wavefront_size: 32
  - .args:
      - .offset:         0
        .size:           88
        .value_kind:     by_value
    .group_segment_fixed_size: 0
    .kernarg_segment_align: 8
    .kernarg_segment_size: 88
    .language:       OpenCL C
    .language_version:
      - 2
      - 0
    .max_flat_workgroup_size: 256
    .name:           _ZN7rocprim17ROCPRIM_400000_NS6detail17trampoline_kernelINS0_14default_configENS1_22reduce_config_selectorI18summary_stats_dataIfEEEZNS1_11reduce_implILb1ES3_N6thrust23THRUST_200600_302600_NS11hip_rocprim26transform_input_iterator_tIS6_NSA_6detail15normal_iteratorINSA_10device_ptrIfEEEE22summary_stats_unary_opIfEEEPS6_S6_23summary_stats_binary_opIfEEE10hipError_tPvRmT1_T2_T3_mT4_P12ihipStream_tbEUlT_E0_NS1_11comp_targetILNS1_3genE2ELNS1_11target_archE906ELNS1_3gpuE6ELNS1_3repE0EEENS1_30default_config_static_selectorELNS0_4arch9wavefront6targetE0EEEvSR_
    .private_segment_fixed_size: 0
    .sgpr_count:     0
    .sgpr_spill_count: 0
    .symbol:         _ZN7rocprim17ROCPRIM_400000_NS6detail17trampoline_kernelINS0_14default_configENS1_22reduce_config_selectorI18summary_stats_dataIfEEEZNS1_11reduce_implILb1ES3_N6thrust23THRUST_200600_302600_NS11hip_rocprim26transform_input_iterator_tIS6_NSA_6detail15normal_iteratorINSA_10device_ptrIfEEEE22summary_stats_unary_opIfEEEPS6_S6_23summary_stats_binary_opIfEEE10hipError_tPvRmT1_T2_T3_mT4_P12ihipStream_tbEUlT_E0_NS1_11comp_targetILNS1_3genE2ELNS1_11target_archE906ELNS1_3gpuE6ELNS1_3repE0EEENS1_30default_config_static_selectorELNS0_4arch9wavefront6targetE0EEEvSR_.kd
    .uniform_work_group_size: 1
    .uses_dynamic_stack: false
    .vgpr_count:     0
    .vgpr_spill_count: 0
    .wavefront_size: 32
  - .args:
      - .offset:         0
        .size:           88
        .value_kind:     by_value
    .group_segment_fixed_size: 0
    .kernarg_segment_align: 8
    .kernarg_segment_size: 88
    .language:       OpenCL C
    .language_version:
      - 2
      - 0
    .max_flat_workgroup_size: 256
    .name:           _ZN7rocprim17ROCPRIM_400000_NS6detail17trampoline_kernelINS0_14default_configENS1_22reduce_config_selectorI18summary_stats_dataIfEEEZNS1_11reduce_implILb1ES3_N6thrust23THRUST_200600_302600_NS11hip_rocprim26transform_input_iterator_tIS6_NSA_6detail15normal_iteratorINSA_10device_ptrIfEEEE22summary_stats_unary_opIfEEEPS6_S6_23summary_stats_binary_opIfEEE10hipError_tPvRmT1_T2_T3_mT4_P12ihipStream_tbEUlT_E0_NS1_11comp_targetILNS1_3genE10ELNS1_11target_archE1201ELNS1_3gpuE5ELNS1_3repE0EEENS1_30default_config_static_selectorELNS0_4arch9wavefront6targetE0EEEvSR_
    .private_segment_fixed_size: 0
    .sgpr_count:     0
    .sgpr_spill_count: 0
    .symbol:         _ZN7rocprim17ROCPRIM_400000_NS6detail17trampoline_kernelINS0_14default_configENS1_22reduce_config_selectorI18summary_stats_dataIfEEEZNS1_11reduce_implILb1ES3_N6thrust23THRUST_200600_302600_NS11hip_rocprim26transform_input_iterator_tIS6_NSA_6detail15normal_iteratorINSA_10device_ptrIfEEEE22summary_stats_unary_opIfEEEPS6_S6_23summary_stats_binary_opIfEEE10hipError_tPvRmT1_T2_T3_mT4_P12ihipStream_tbEUlT_E0_NS1_11comp_targetILNS1_3genE10ELNS1_11target_archE1201ELNS1_3gpuE5ELNS1_3repE0EEENS1_30default_config_static_selectorELNS0_4arch9wavefront6targetE0EEEvSR_.kd
    .uniform_work_group_size: 1
    .uses_dynamic_stack: false
    .vgpr_count:     0
    .vgpr_spill_count: 0
    .wavefront_size: 32
  - .args:
      - .offset:         0
        .size:           88
        .value_kind:     by_value
    .group_segment_fixed_size: 0
    .kernarg_segment_align: 8
    .kernarg_segment_size: 88
    .language:       OpenCL C
    .language_version:
      - 2
      - 0
    .max_flat_workgroup_size: 256
    .name:           _ZN7rocprim17ROCPRIM_400000_NS6detail17trampoline_kernelINS0_14default_configENS1_22reduce_config_selectorI18summary_stats_dataIfEEEZNS1_11reduce_implILb1ES3_N6thrust23THRUST_200600_302600_NS11hip_rocprim26transform_input_iterator_tIS6_NSA_6detail15normal_iteratorINSA_10device_ptrIfEEEE22summary_stats_unary_opIfEEEPS6_S6_23summary_stats_binary_opIfEEE10hipError_tPvRmT1_T2_T3_mT4_P12ihipStream_tbEUlT_E0_NS1_11comp_targetILNS1_3genE10ELNS1_11target_archE1200ELNS1_3gpuE4ELNS1_3repE0EEENS1_30default_config_static_selectorELNS0_4arch9wavefront6targetE0EEEvSR_
    .private_segment_fixed_size: 0
    .sgpr_count:     0
    .sgpr_spill_count: 0
    .symbol:         _ZN7rocprim17ROCPRIM_400000_NS6detail17trampoline_kernelINS0_14default_configENS1_22reduce_config_selectorI18summary_stats_dataIfEEEZNS1_11reduce_implILb1ES3_N6thrust23THRUST_200600_302600_NS11hip_rocprim26transform_input_iterator_tIS6_NSA_6detail15normal_iteratorINSA_10device_ptrIfEEEE22summary_stats_unary_opIfEEEPS6_S6_23summary_stats_binary_opIfEEE10hipError_tPvRmT1_T2_T3_mT4_P12ihipStream_tbEUlT_E0_NS1_11comp_targetILNS1_3genE10ELNS1_11target_archE1200ELNS1_3gpuE4ELNS1_3repE0EEENS1_30default_config_static_selectorELNS0_4arch9wavefront6targetE0EEEvSR_.kd
    .uniform_work_group_size: 1
    .uses_dynamic_stack: false
    .vgpr_count:     0
    .vgpr_spill_count: 0
    .wavefront_size: 32
  - .args:
      - .offset:         0
        .size:           88
        .value_kind:     by_value
    .group_segment_fixed_size: 0
    .kernarg_segment_align: 8
    .kernarg_segment_size: 88
    .language:       OpenCL C
    .language_version:
      - 2
      - 0
    .max_flat_workgroup_size: 256
    .name:           _ZN7rocprim17ROCPRIM_400000_NS6detail17trampoline_kernelINS0_14default_configENS1_22reduce_config_selectorI18summary_stats_dataIfEEEZNS1_11reduce_implILb1ES3_N6thrust23THRUST_200600_302600_NS11hip_rocprim26transform_input_iterator_tIS6_NSA_6detail15normal_iteratorINSA_10device_ptrIfEEEE22summary_stats_unary_opIfEEEPS6_S6_23summary_stats_binary_opIfEEE10hipError_tPvRmT1_T2_T3_mT4_P12ihipStream_tbEUlT_E0_NS1_11comp_targetILNS1_3genE9ELNS1_11target_archE1100ELNS1_3gpuE3ELNS1_3repE0EEENS1_30default_config_static_selectorELNS0_4arch9wavefront6targetE0EEEvSR_
    .private_segment_fixed_size: 0
    .sgpr_count:     0
    .sgpr_spill_count: 0
    .symbol:         _ZN7rocprim17ROCPRIM_400000_NS6detail17trampoline_kernelINS0_14default_configENS1_22reduce_config_selectorI18summary_stats_dataIfEEEZNS1_11reduce_implILb1ES3_N6thrust23THRUST_200600_302600_NS11hip_rocprim26transform_input_iterator_tIS6_NSA_6detail15normal_iteratorINSA_10device_ptrIfEEEE22summary_stats_unary_opIfEEEPS6_S6_23summary_stats_binary_opIfEEE10hipError_tPvRmT1_T2_T3_mT4_P12ihipStream_tbEUlT_E0_NS1_11comp_targetILNS1_3genE9ELNS1_11target_archE1100ELNS1_3gpuE3ELNS1_3repE0EEENS1_30default_config_static_selectorELNS0_4arch9wavefront6targetE0EEEvSR_.kd
    .uniform_work_group_size: 1
    .uses_dynamic_stack: false
    .vgpr_count:     0
    .vgpr_spill_count: 0
    .wavefront_size: 32
  - .args:
      - .offset:         0
        .size:           88
        .value_kind:     by_value
    .group_segment_fixed_size: 0
    .kernarg_segment_align: 8
    .kernarg_segment_size: 88
    .language:       OpenCL C
    .language_version:
      - 2
      - 0
    .max_flat_workgroup_size: 256
    .name:           _ZN7rocprim17ROCPRIM_400000_NS6detail17trampoline_kernelINS0_14default_configENS1_22reduce_config_selectorI18summary_stats_dataIfEEEZNS1_11reduce_implILb1ES3_N6thrust23THRUST_200600_302600_NS11hip_rocprim26transform_input_iterator_tIS6_NSA_6detail15normal_iteratorINSA_10device_ptrIfEEEE22summary_stats_unary_opIfEEEPS6_S6_23summary_stats_binary_opIfEEE10hipError_tPvRmT1_T2_T3_mT4_P12ihipStream_tbEUlT_E0_NS1_11comp_targetILNS1_3genE8ELNS1_11target_archE1030ELNS1_3gpuE2ELNS1_3repE0EEENS1_30default_config_static_selectorELNS0_4arch9wavefront6targetE0EEEvSR_
    .private_segment_fixed_size: 0
    .sgpr_count:     0
    .sgpr_spill_count: 0
    .symbol:         _ZN7rocprim17ROCPRIM_400000_NS6detail17trampoline_kernelINS0_14default_configENS1_22reduce_config_selectorI18summary_stats_dataIfEEEZNS1_11reduce_implILb1ES3_N6thrust23THRUST_200600_302600_NS11hip_rocprim26transform_input_iterator_tIS6_NSA_6detail15normal_iteratorINSA_10device_ptrIfEEEE22summary_stats_unary_opIfEEEPS6_S6_23summary_stats_binary_opIfEEE10hipError_tPvRmT1_T2_T3_mT4_P12ihipStream_tbEUlT_E0_NS1_11comp_targetILNS1_3genE8ELNS1_11target_archE1030ELNS1_3gpuE2ELNS1_3repE0EEENS1_30default_config_static_selectorELNS0_4arch9wavefront6targetE0EEEvSR_.kd
    .uniform_work_group_size: 1
    .uses_dynamic_stack: false
    .vgpr_count:     0
    .vgpr_spill_count: 0
    .wavefront_size: 32
  - .args:
      - .offset:         0
        .size:           72
        .value_kind:     by_value
    .group_segment_fixed_size: 896
    .kernarg_segment_align: 8
    .kernarg_segment_size: 72
    .language:       OpenCL C
    .language_version:
      - 2
      - 0
    .max_flat_workgroup_size: 256
    .name:           _ZN7rocprim17ROCPRIM_400000_NS6detail17trampoline_kernelINS0_14default_configENS1_22reduce_config_selectorI18summary_stats_dataIfEEEZNS1_11reduce_implILb1ES3_N6thrust23THRUST_200600_302600_NS11hip_rocprim26transform_input_iterator_tIS6_NSA_6detail15normal_iteratorINSA_10device_ptrIfEEEE22summary_stats_unary_opIfEEEPS6_S6_23summary_stats_binary_opIfEEE10hipError_tPvRmT1_T2_T3_mT4_P12ihipStream_tbEUlT_E1_NS1_11comp_targetILNS1_3genE0ELNS1_11target_archE4294967295ELNS1_3gpuE0ELNS1_3repE0EEENS1_30default_config_static_selectorELNS0_4arch9wavefront6targetE0EEEvSR_
    .private_segment_fixed_size: 0
    .sgpr_count:     31
    .sgpr_spill_count: 0
    .symbol:         _ZN7rocprim17ROCPRIM_400000_NS6detail17trampoline_kernelINS0_14default_configENS1_22reduce_config_selectorI18summary_stats_dataIfEEEZNS1_11reduce_implILb1ES3_N6thrust23THRUST_200600_302600_NS11hip_rocprim26transform_input_iterator_tIS6_NSA_6detail15normal_iteratorINSA_10device_ptrIfEEEE22summary_stats_unary_opIfEEEPS6_S6_23summary_stats_binary_opIfEEE10hipError_tPvRmT1_T2_T3_mT4_P12ihipStream_tbEUlT_E1_NS1_11comp_targetILNS1_3genE0ELNS1_11target_archE4294967295ELNS1_3gpuE0ELNS1_3repE0EEENS1_30default_config_static_selectorELNS0_4arch9wavefront6targetE0EEEvSR_.kd
    .uniform_work_group_size: 1
    .uses_dynamic_stack: false
    .vgpr_count:     58
    .vgpr_spill_count: 0
    .wavefront_size: 32
  - .args:
      - .offset:         0
        .size:           72
        .value_kind:     by_value
    .group_segment_fixed_size: 0
    .kernarg_segment_align: 8
    .kernarg_segment_size: 72
    .language:       OpenCL C
    .language_version:
      - 2
      - 0
    .max_flat_workgroup_size: 256
    .name:           _ZN7rocprim17ROCPRIM_400000_NS6detail17trampoline_kernelINS0_14default_configENS1_22reduce_config_selectorI18summary_stats_dataIfEEEZNS1_11reduce_implILb1ES3_N6thrust23THRUST_200600_302600_NS11hip_rocprim26transform_input_iterator_tIS6_NSA_6detail15normal_iteratorINSA_10device_ptrIfEEEE22summary_stats_unary_opIfEEEPS6_S6_23summary_stats_binary_opIfEEE10hipError_tPvRmT1_T2_T3_mT4_P12ihipStream_tbEUlT_E1_NS1_11comp_targetILNS1_3genE5ELNS1_11target_archE942ELNS1_3gpuE9ELNS1_3repE0EEENS1_30default_config_static_selectorELNS0_4arch9wavefront6targetE0EEEvSR_
    .private_segment_fixed_size: 0
    .sgpr_count:     0
    .sgpr_spill_count: 0
    .symbol:         _ZN7rocprim17ROCPRIM_400000_NS6detail17trampoline_kernelINS0_14default_configENS1_22reduce_config_selectorI18summary_stats_dataIfEEEZNS1_11reduce_implILb1ES3_N6thrust23THRUST_200600_302600_NS11hip_rocprim26transform_input_iterator_tIS6_NSA_6detail15normal_iteratorINSA_10device_ptrIfEEEE22summary_stats_unary_opIfEEEPS6_S6_23summary_stats_binary_opIfEEE10hipError_tPvRmT1_T2_T3_mT4_P12ihipStream_tbEUlT_E1_NS1_11comp_targetILNS1_3genE5ELNS1_11target_archE942ELNS1_3gpuE9ELNS1_3repE0EEENS1_30default_config_static_selectorELNS0_4arch9wavefront6targetE0EEEvSR_.kd
    .uniform_work_group_size: 1
    .uses_dynamic_stack: false
    .vgpr_count:     0
    .vgpr_spill_count: 0
    .wavefront_size: 32
  - .args:
      - .offset:         0
        .size:           72
        .value_kind:     by_value
    .group_segment_fixed_size: 0
    .kernarg_segment_align: 8
    .kernarg_segment_size: 72
    .language:       OpenCL C
    .language_version:
      - 2
      - 0
    .max_flat_workgroup_size: 256
    .name:           _ZN7rocprim17ROCPRIM_400000_NS6detail17trampoline_kernelINS0_14default_configENS1_22reduce_config_selectorI18summary_stats_dataIfEEEZNS1_11reduce_implILb1ES3_N6thrust23THRUST_200600_302600_NS11hip_rocprim26transform_input_iterator_tIS6_NSA_6detail15normal_iteratorINSA_10device_ptrIfEEEE22summary_stats_unary_opIfEEEPS6_S6_23summary_stats_binary_opIfEEE10hipError_tPvRmT1_T2_T3_mT4_P12ihipStream_tbEUlT_E1_NS1_11comp_targetILNS1_3genE4ELNS1_11target_archE910ELNS1_3gpuE8ELNS1_3repE0EEENS1_30default_config_static_selectorELNS0_4arch9wavefront6targetE0EEEvSR_
    .private_segment_fixed_size: 0
    .sgpr_count:     0
    .sgpr_spill_count: 0
    .symbol:         _ZN7rocprim17ROCPRIM_400000_NS6detail17trampoline_kernelINS0_14default_configENS1_22reduce_config_selectorI18summary_stats_dataIfEEEZNS1_11reduce_implILb1ES3_N6thrust23THRUST_200600_302600_NS11hip_rocprim26transform_input_iterator_tIS6_NSA_6detail15normal_iteratorINSA_10device_ptrIfEEEE22summary_stats_unary_opIfEEEPS6_S6_23summary_stats_binary_opIfEEE10hipError_tPvRmT1_T2_T3_mT4_P12ihipStream_tbEUlT_E1_NS1_11comp_targetILNS1_3genE4ELNS1_11target_archE910ELNS1_3gpuE8ELNS1_3repE0EEENS1_30default_config_static_selectorELNS0_4arch9wavefront6targetE0EEEvSR_.kd
    .uniform_work_group_size: 1
    .uses_dynamic_stack: false
    .vgpr_count:     0
    .vgpr_spill_count: 0
    .wavefront_size: 32
  - .args:
      - .offset:         0
        .size:           72
        .value_kind:     by_value
    .group_segment_fixed_size: 0
    .kernarg_segment_align: 8
    .kernarg_segment_size: 72
    .language:       OpenCL C
    .language_version:
      - 2
      - 0
    .max_flat_workgroup_size: 256
    .name:           _ZN7rocprim17ROCPRIM_400000_NS6detail17trampoline_kernelINS0_14default_configENS1_22reduce_config_selectorI18summary_stats_dataIfEEEZNS1_11reduce_implILb1ES3_N6thrust23THRUST_200600_302600_NS11hip_rocprim26transform_input_iterator_tIS6_NSA_6detail15normal_iteratorINSA_10device_ptrIfEEEE22summary_stats_unary_opIfEEEPS6_S6_23summary_stats_binary_opIfEEE10hipError_tPvRmT1_T2_T3_mT4_P12ihipStream_tbEUlT_E1_NS1_11comp_targetILNS1_3genE3ELNS1_11target_archE908ELNS1_3gpuE7ELNS1_3repE0EEENS1_30default_config_static_selectorELNS0_4arch9wavefront6targetE0EEEvSR_
    .private_segment_fixed_size: 0
    .sgpr_count:     0
    .sgpr_spill_count: 0
    .symbol:         _ZN7rocprim17ROCPRIM_400000_NS6detail17trampoline_kernelINS0_14default_configENS1_22reduce_config_selectorI18summary_stats_dataIfEEEZNS1_11reduce_implILb1ES3_N6thrust23THRUST_200600_302600_NS11hip_rocprim26transform_input_iterator_tIS6_NSA_6detail15normal_iteratorINSA_10device_ptrIfEEEE22summary_stats_unary_opIfEEEPS6_S6_23summary_stats_binary_opIfEEE10hipError_tPvRmT1_T2_T3_mT4_P12ihipStream_tbEUlT_E1_NS1_11comp_targetILNS1_3genE3ELNS1_11target_archE908ELNS1_3gpuE7ELNS1_3repE0EEENS1_30default_config_static_selectorELNS0_4arch9wavefront6targetE0EEEvSR_.kd
    .uniform_work_group_size: 1
    .uses_dynamic_stack: false
    .vgpr_count:     0
    .vgpr_spill_count: 0
    .wavefront_size: 32
  - .args:
      - .offset:         0
        .size:           72
        .value_kind:     by_value
    .group_segment_fixed_size: 0
    .kernarg_segment_align: 8
    .kernarg_segment_size: 72
    .language:       OpenCL C
    .language_version:
      - 2
      - 0
    .max_flat_workgroup_size: 256
    .name:           _ZN7rocprim17ROCPRIM_400000_NS6detail17trampoline_kernelINS0_14default_configENS1_22reduce_config_selectorI18summary_stats_dataIfEEEZNS1_11reduce_implILb1ES3_N6thrust23THRUST_200600_302600_NS11hip_rocprim26transform_input_iterator_tIS6_NSA_6detail15normal_iteratorINSA_10device_ptrIfEEEE22summary_stats_unary_opIfEEEPS6_S6_23summary_stats_binary_opIfEEE10hipError_tPvRmT1_T2_T3_mT4_P12ihipStream_tbEUlT_E1_NS1_11comp_targetILNS1_3genE2ELNS1_11target_archE906ELNS1_3gpuE6ELNS1_3repE0EEENS1_30default_config_static_selectorELNS0_4arch9wavefront6targetE0EEEvSR_
    .private_segment_fixed_size: 0
    .sgpr_count:     0
    .sgpr_spill_count: 0
    .symbol:         _ZN7rocprim17ROCPRIM_400000_NS6detail17trampoline_kernelINS0_14default_configENS1_22reduce_config_selectorI18summary_stats_dataIfEEEZNS1_11reduce_implILb1ES3_N6thrust23THRUST_200600_302600_NS11hip_rocprim26transform_input_iterator_tIS6_NSA_6detail15normal_iteratorINSA_10device_ptrIfEEEE22summary_stats_unary_opIfEEEPS6_S6_23summary_stats_binary_opIfEEE10hipError_tPvRmT1_T2_T3_mT4_P12ihipStream_tbEUlT_E1_NS1_11comp_targetILNS1_3genE2ELNS1_11target_archE906ELNS1_3gpuE6ELNS1_3repE0EEENS1_30default_config_static_selectorELNS0_4arch9wavefront6targetE0EEEvSR_.kd
    .uniform_work_group_size: 1
    .uses_dynamic_stack: false
    .vgpr_count:     0
    .vgpr_spill_count: 0
    .wavefront_size: 32
  - .args:
      - .offset:         0
        .size:           72
        .value_kind:     by_value
    .group_segment_fixed_size: 0
    .kernarg_segment_align: 8
    .kernarg_segment_size: 72
    .language:       OpenCL C
    .language_version:
      - 2
      - 0
    .max_flat_workgroup_size: 256
    .name:           _ZN7rocprim17ROCPRIM_400000_NS6detail17trampoline_kernelINS0_14default_configENS1_22reduce_config_selectorI18summary_stats_dataIfEEEZNS1_11reduce_implILb1ES3_N6thrust23THRUST_200600_302600_NS11hip_rocprim26transform_input_iterator_tIS6_NSA_6detail15normal_iteratorINSA_10device_ptrIfEEEE22summary_stats_unary_opIfEEEPS6_S6_23summary_stats_binary_opIfEEE10hipError_tPvRmT1_T2_T3_mT4_P12ihipStream_tbEUlT_E1_NS1_11comp_targetILNS1_3genE10ELNS1_11target_archE1201ELNS1_3gpuE5ELNS1_3repE0EEENS1_30default_config_static_selectorELNS0_4arch9wavefront6targetE0EEEvSR_
    .private_segment_fixed_size: 0
    .sgpr_count:     0
    .sgpr_spill_count: 0
    .symbol:         _ZN7rocprim17ROCPRIM_400000_NS6detail17trampoline_kernelINS0_14default_configENS1_22reduce_config_selectorI18summary_stats_dataIfEEEZNS1_11reduce_implILb1ES3_N6thrust23THRUST_200600_302600_NS11hip_rocprim26transform_input_iterator_tIS6_NSA_6detail15normal_iteratorINSA_10device_ptrIfEEEE22summary_stats_unary_opIfEEEPS6_S6_23summary_stats_binary_opIfEEE10hipError_tPvRmT1_T2_T3_mT4_P12ihipStream_tbEUlT_E1_NS1_11comp_targetILNS1_3genE10ELNS1_11target_archE1201ELNS1_3gpuE5ELNS1_3repE0EEENS1_30default_config_static_selectorELNS0_4arch9wavefront6targetE0EEEvSR_.kd
    .uniform_work_group_size: 1
    .uses_dynamic_stack: false
    .vgpr_count:     0
    .vgpr_spill_count: 0
    .wavefront_size: 32
  - .args:
      - .offset:         0
        .size:           72
        .value_kind:     by_value
    .group_segment_fixed_size: 0
    .kernarg_segment_align: 8
    .kernarg_segment_size: 72
    .language:       OpenCL C
    .language_version:
      - 2
      - 0
    .max_flat_workgroup_size: 256
    .name:           _ZN7rocprim17ROCPRIM_400000_NS6detail17trampoline_kernelINS0_14default_configENS1_22reduce_config_selectorI18summary_stats_dataIfEEEZNS1_11reduce_implILb1ES3_N6thrust23THRUST_200600_302600_NS11hip_rocprim26transform_input_iterator_tIS6_NSA_6detail15normal_iteratorINSA_10device_ptrIfEEEE22summary_stats_unary_opIfEEEPS6_S6_23summary_stats_binary_opIfEEE10hipError_tPvRmT1_T2_T3_mT4_P12ihipStream_tbEUlT_E1_NS1_11comp_targetILNS1_3genE10ELNS1_11target_archE1200ELNS1_3gpuE4ELNS1_3repE0EEENS1_30default_config_static_selectorELNS0_4arch9wavefront6targetE0EEEvSR_
    .private_segment_fixed_size: 0
    .sgpr_count:     0
    .sgpr_spill_count: 0
    .symbol:         _ZN7rocprim17ROCPRIM_400000_NS6detail17trampoline_kernelINS0_14default_configENS1_22reduce_config_selectorI18summary_stats_dataIfEEEZNS1_11reduce_implILb1ES3_N6thrust23THRUST_200600_302600_NS11hip_rocprim26transform_input_iterator_tIS6_NSA_6detail15normal_iteratorINSA_10device_ptrIfEEEE22summary_stats_unary_opIfEEEPS6_S6_23summary_stats_binary_opIfEEE10hipError_tPvRmT1_T2_T3_mT4_P12ihipStream_tbEUlT_E1_NS1_11comp_targetILNS1_3genE10ELNS1_11target_archE1200ELNS1_3gpuE4ELNS1_3repE0EEENS1_30default_config_static_selectorELNS0_4arch9wavefront6targetE0EEEvSR_.kd
    .uniform_work_group_size: 1
    .uses_dynamic_stack: false
    .vgpr_count:     0
    .vgpr_spill_count: 0
    .wavefront_size: 32
  - .args:
      - .offset:         0
        .size:           72
        .value_kind:     by_value
    .group_segment_fixed_size: 0
    .kernarg_segment_align: 8
    .kernarg_segment_size: 72
    .language:       OpenCL C
    .language_version:
      - 2
      - 0
    .max_flat_workgroup_size: 256
    .name:           _ZN7rocprim17ROCPRIM_400000_NS6detail17trampoline_kernelINS0_14default_configENS1_22reduce_config_selectorI18summary_stats_dataIfEEEZNS1_11reduce_implILb1ES3_N6thrust23THRUST_200600_302600_NS11hip_rocprim26transform_input_iterator_tIS6_NSA_6detail15normal_iteratorINSA_10device_ptrIfEEEE22summary_stats_unary_opIfEEEPS6_S6_23summary_stats_binary_opIfEEE10hipError_tPvRmT1_T2_T3_mT4_P12ihipStream_tbEUlT_E1_NS1_11comp_targetILNS1_3genE9ELNS1_11target_archE1100ELNS1_3gpuE3ELNS1_3repE0EEENS1_30default_config_static_selectorELNS0_4arch9wavefront6targetE0EEEvSR_
    .private_segment_fixed_size: 0
    .sgpr_count:     0
    .sgpr_spill_count: 0
    .symbol:         _ZN7rocprim17ROCPRIM_400000_NS6detail17trampoline_kernelINS0_14default_configENS1_22reduce_config_selectorI18summary_stats_dataIfEEEZNS1_11reduce_implILb1ES3_N6thrust23THRUST_200600_302600_NS11hip_rocprim26transform_input_iterator_tIS6_NSA_6detail15normal_iteratorINSA_10device_ptrIfEEEE22summary_stats_unary_opIfEEEPS6_S6_23summary_stats_binary_opIfEEE10hipError_tPvRmT1_T2_T3_mT4_P12ihipStream_tbEUlT_E1_NS1_11comp_targetILNS1_3genE9ELNS1_11target_archE1100ELNS1_3gpuE3ELNS1_3repE0EEENS1_30default_config_static_selectorELNS0_4arch9wavefront6targetE0EEEvSR_.kd
    .uniform_work_group_size: 1
    .uses_dynamic_stack: false
    .vgpr_count:     0
    .vgpr_spill_count: 0
    .wavefront_size: 32
  - .args:
      - .offset:         0
        .size:           72
        .value_kind:     by_value
    .group_segment_fixed_size: 0
    .kernarg_segment_align: 8
    .kernarg_segment_size: 72
    .language:       OpenCL C
    .language_version:
      - 2
      - 0
    .max_flat_workgroup_size: 256
    .name:           _ZN7rocprim17ROCPRIM_400000_NS6detail17trampoline_kernelINS0_14default_configENS1_22reduce_config_selectorI18summary_stats_dataIfEEEZNS1_11reduce_implILb1ES3_N6thrust23THRUST_200600_302600_NS11hip_rocprim26transform_input_iterator_tIS6_NSA_6detail15normal_iteratorINSA_10device_ptrIfEEEE22summary_stats_unary_opIfEEEPS6_S6_23summary_stats_binary_opIfEEE10hipError_tPvRmT1_T2_T3_mT4_P12ihipStream_tbEUlT_E1_NS1_11comp_targetILNS1_3genE8ELNS1_11target_archE1030ELNS1_3gpuE2ELNS1_3repE0EEENS1_30default_config_static_selectorELNS0_4arch9wavefront6targetE0EEEvSR_
    .private_segment_fixed_size: 0
    .sgpr_count:     0
    .sgpr_spill_count: 0
    .symbol:         _ZN7rocprim17ROCPRIM_400000_NS6detail17trampoline_kernelINS0_14default_configENS1_22reduce_config_selectorI18summary_stats_dataIfEEEZNS1_11reduce_implILb1ES3_N6thrust23THRUST_200600_302600_NS11hip_rocprim26transform_input_iterator_tIS6_NSA_6detail15normal_iteratorINSA_10device_ptrIfEEEE22summary_stats_unary_opIfEEEPS6_S6_23summary_stats_binary_opIfEEE10hipError_tPvRmT1_T2_T3_mT4_P12ihipStream_tbEUlT_E1_NS1_11comp_targetILNS1_3genE8ELNS1_11target_archE1030ELNS1_3gpuE2ELNS1_3repE0EEENS1_30default_config_static_selectorELNS0_4arch9wavefront6targetE0EEEvSR_.kd
    .uniform_work_group_size: 1
    .uses_dynamic_stack: false
    .vgpr_count:     0
    .vgpr_spill_count: 0
    .wavefront_size: 32
  - .args:
      - .offset:         0
        .size:           16
        .value_kind:     by_value
      - .offset:         16
        .size:           8
        .value_kind:     by_value
      - .offset:         24
        .size:           8
        .value_kind:     by_value
    .group_segment_fixed_size: 0
    .kernarg_segment_align: 8
    .kernarg_segment_size: 32
    .language:       OpenCL C
    .language_version:
      - 2
      - 0
    .max_flat_workgroup_size: 256
    .name:           _ZN6thrust23THRUST_200600_302600_NS11hip_rocprim14__parallel_for6kernelILj256ENS1_20__uninitialized_copy7functorINS0_6detail15normal_iteratorINS0_10device_ptrIfEEEENS0_7pointerIfNS1_3tagENS0_11use_defaultESD_EEEEmLj1EEEvT0_T1_SH_
    .private_segment_fixed_size: 0
    .sgpr_count:     14
    .sgpr_spill_count: 0
    .symbol:         _ZN6thrust23THRUST_200600_302600_NS11hip_rocprim14__parallel_for6kernelILj256ENS1_20__uninitialized_copy7functorINS0_6detail15normal_iteratorINS0_10device_ptrIfEEEENS0_7pointerIfNS1_3tagENS0_11use_defaultESD_EEEEmLj1EEEvT0_T1_SH_.kd
    .uniform_work_group_size: 1
    .uses_dynamic_stack: false
    .vgpr_count:     6
    .vgpr_spill_count: 0
    .wavefront_size: 32
amdhsa.target:   amdgcn-amd-amdhsa--gfx1250
amdhsa.version:
  - 1
  - 2
...

	.end_amdgpu_metadata
